;; amdgpu-corpus repo=ROCm/rocFFT kind=compiled arch=gfx906 opt=O3
	.text
	.amdgcn_target "amdgcn-amd-amdhsa--gfx906"
	.amdhsa_code_object_version 6
	.protected	fft_rtc_back_len3600_factors_10_10_6_6_wgs_120_tpt_120_halfLds_dp_op_CI_CI_unitstride_sbrr_dirReg ; -- Begin function fft_rtc_back_len3600_factors_10_10_6_6_wgs_120_tpt_120_halfLds_dp_op_CI_CI_unitstride_sbrr_dirReg
	.globl	fft_rtc_back_len3600_factors_10_10_6_6_wgs_120_tpt_120_halfLds_dp_op_CI_CI_unitstride_sbrr_dirReg
	.p2align	8
	.type	fft_rtc_back_len3600_factors_10_10_6_6_wgs_120_tpt_120_halfLds_dp_op_CI_CI_unitstride_sbrr_dirReg,@function
fft_rtc_back_len3600_factors_10_10_6_6_wgs_120_tpt_120_halfLds_dp_op_CI_CI_unitstride_sbrr_dirReg: ; @fft_rtc_back_len3600_factors_10_10_6_6_wgs_120_tpt_120_halfLds_dp_op_CI_CI_unitstride_sbrr_dirReg
; %bb.0:
	s_load_dwordx4 s[8:11], s[4:5], 0x58
	s_load_dwordx4 s[12:15], s[4:5], 0x0
	;; [unrolled: 1-line block ×3, first 2 shown]
	v_mul_u32_u24_e32 v1, 0x223, v0
	v_add_u32_sdwa v6, s6, v1 dst_sel:DWORD dst_unused:UNUSED_PAD src0_sel:DWORD src1_sel:WORD_1
	v_mov_b32_e32 v1, 0
	s_waitcnt lgkmcnt(0)
	v_cmp_lt_u64_e64 s[0:1], s[14:15], 2
	v_mov_b32_e32 v4, 0
	v_mov_b32_e32 v7, v1
	s_and_b64 vcc, exec, s[0:1]
	v_mov_b32_e32 v5, 0
	s_cbranch_vccnz .LBB0_8
; %bb.1:
	s_load_dwordx2 s[0:1], s[4:5], 0x10
	s_add_u32 s2, s18, 8
	s_addc_u32 s3, s19, 0
	s_add_u32 s6, s16, 8
	v_mov_b32_e32 v4, 0
	s_addc_u32 s7, s17, 0
	v_mov_b32_e32 v5, 0
	s_waitcnt lgkmcnt(0)
	s_add_u32 s20, s0, 8
	v_mov_b32_e32 v121, v5
	s_addc_u32 s21, s1, 0
	s_mov_b64 s[22:23], 1
	v_mov_b32_e32 v120, v4
.LBB0_2:                                ; =>This Inner Loop Header: Depth=1
	s_load_dwordx2 s[24:25], s[20:21], 0x0
                                        ; implicit-def: $vgpr122_vgpr123
	s_waitcnt lgkmcnt(0)
	v_or_b32_e32 v2, s25, v7
	v_cmp_ne_u64_e32 vcc, 0, v[1:2]
	s_and_saveexec_b64 s[0:1], vcc
	s_xor_b64 s[26:27], exec, s[0:1]
	s_cbranch_execz .LBB0_4
; %bb.3:                                ;   in Loop: Header=BB0_2 Depth=1
	v_cvt_f32_u32_e32 v2, s24
	v_cvt_f32_u32_e32 v3, s25
	s_sub_u32 s0, 0, s24
	s_subb_u32 s1, 0, s25
	v_mac_f32_e32 v2, 0x4f800000, v3
	v_rcp_f32_e32 v2, v2
	v_mul_f32_e32 v2, 0x5f7ffffc, v2
	v_mul_f32_e32 v3, 0x2f800000, v2
	v_trunc_f32_e32 v3, v3
	v_mac_f32_e32 v2, 0xcf800000, v3
	v_cvt_u32_f32_e32 v3, v3
	v_cvt_u32_f32_e32 v2, v2
	v_mul_lo_u32 v8, s0, v3
	v_mul_hi_u32 v9, s0, v2
	v_mul_lo_u32 v11, s1, v2
	v_mul_lo_u32 v10, s0, v2
	v_add_u32_e32 v8, v9, v8
	v_add_u32_e32 v8, v8, v11
	v_mul_hi_u32 v9, v2, v10
	v_mul_lo_u32 v11, v2, v8
	v_mul_hi_u32 v13, v2, v8
	v_mul_hi_u32 v12, v3, v10
	v_mul_lo_u32 v10, v3, v10
	v_mul_hi_u32 v14, v3, v8
	v_add_co_u32_e32 v9, vcc, v9, v11
	v_addc_co_u32_e32 v11, vcc, 0, v13, vcc
	v_mul_lo_u32 v8, v3, v8
	v_add_co_u32_e32 v9, vcc, v9, v10
	v_addc_co_u32_e32 v9, vcc, v11, v12, vcc
	v_addc_co_u32_e32 v10, vcc, 0, v14, vcc
	v_add_co_u32_e32 v8, vcc, v9, v8
	v_addc_co_u32_e32 v9, vcc, 0, v10, vcc
	v_add_co_u32_e32 v2, vcc, v2, v8
	v_addc_co_u32_e32 v3, vcc, v3, v9, vcc
	v_mul_lo_u32 v8, s0, v3
	v_mul_hi_u32 v9, s0, v2
	v_mul_lo_u32 v10, s1, v2
	v_mul_lo_u32 v11, s0, v2
	v_add_u32_e32 v8, v9, v8
	v_add_u32_e32 v8, v8, v10
	v_mul_lo_u32 v12, v2, v8
	v_mul_hi_u32 v13, v2, v11
	v_mul_hi_u32 v14, v2, v8
	v_mul_hi_u32 v10, v3, v11
	v_mul_lo_u32 v11, v3, v11
	v_mul_hi_u32 v9, v3, v8
	v_add_co_u32_e32 v12, vcc, v13, v12
	v_addc_co_u32_e32 v13, vcc, 0, v14, vcc
	v_mul_lo_u32 v8, v3, v8
	v_add_co_u32_e32 v11, vcc, v12, v11
	v_addc_co_u32_e32 v10, vcc, v13, v10, vcc
	v_addc_co_u32_e32 v9, vcc, 0, v9, vcc
	v_add_co_u32_e32 v8, vcc, v10, v8
	v_addc_co_u32_e32 v9, vcc, 0, v9, vcc
	v_add_co_u32_e32 v8, vcc, v2, v8
	v_addc_co_u32_e32 v9, vcc, v3, v9, vcc
	v_mad_u64_u32 v[2:3], s[0:1], v6, v9, 0
	v_mul_hi_u32 v10, v6, v8
	v_add_co_u32_e32 v10, vcc, v10, v2
	v_addc_co_u32_e32 v11, vcc, 0, v3, vcc
	v_mad_u64_u32 v[2:3], s[0:1], v7, v8, 0
	v_mad_u64_u32 v[8:9], s[0:1], v7, v9, 0
	v_add_co_u32_e32 v2, vcc, v10, v2
	v_addc_co_u32_e32 v2, vcc, v11, v3, vcc
	v_addc_co_u32_e32 v3, vcc, 0, v9, vcc
	v_add_co_u32_e32 v8, vcc, v2, v8
	v_addc_co_u32_e32 v9, vcc, 0, v3, vcc
	v_mul_lo_u32 v10, s25, v8
	v_mul_lo_u32 v11, s24, v9
	v_mad_u64_u32 v[2:3], s[0:1], s24, v8, 0
	v_add3_u32 v3, v3, v11, v10
	v_sub_u32_e32 v10, v7, v3
	v_mov_b32_e32 v11, s25
	v_sub_co_u32_e32 v2, vcc, v6, v2
	v_subb_co_u32_e64 v10, s[0:1], v10, v11, vcc
	v_subrev_co_u32_e64 v11, s[0:1], s24, v2
	v_subbrev_co_u32_e64 v10, s[0:1], 0, v10, s[0:1]
	v_cmp_le_u32_e64 s[0:1], s25, v10
	v_cndmask_b32_e64 v12, 0, -1, s[0:1]
	v_cmp_le_u32_e64 s[0:1], s24, v11
	v_cndmask_b32_e64 v11, 0, -1, s[0:1]
	v_cmp_eq_u32_e64 s[0:1], s25, v10
	v_cndmask_b32_e64 v10, v12, v11, s[0:1]
	v_add_co_u32_e64 v11, s[0:1], 2, v8
	v_addc_co_u32_e64 v12, s[0:1], 0, v9, s[0:1]
	v_add_co_u32_e64 v13, s[0:1], 1, v8
	v_addc_co_u32_e64 v14, s[0:1], 0, v9, s[0:1]
	v_subb_co_u32_e32 v3, vcc, v7, v3, vcc
	v_cmp_ne_u32_e64 s[0:1], 0, v10
	v_cmp_le_u32_e32 vcc, s25, v3
	v_cndmask_b32_e64 v10, v14, v12, s[0:1]
	v_cndmask_b32_e64 v12, 0, -1, vcc
	v_cmp_le_u32_e32 vcc, s24, v2
	v_cndmask_b32_e64 v2, 0, -1, vcc
	v_cmp_eq_u32_e32 vcc, s25, v3
	v_cndmask_b32_e32 v2, v12, v2, vcc
	v_cmp_ne_u32_e32 vcc, 0, v2
	v_cndmask_b32_e64 v2, v13, v11, s[0:1]
	v_cndmask_b32_e32 v123, v9, v10, vcc
	v_cndmask_b32_e32 v122, v8, v2, vcc
.LBB0_4:                                ;   in Loop: Header=BB0_2 Depth=1
	s_andn2_saveexec_b64 s[0:1], s[26:27]
	s_cbranch_execz .LBB0_6
; %bb.5:                                ;   in Loop: Header=BB0_2 Depth=1
	v_cvt_f32_u32_e32 v2, s24
	s_sub_i32 s26, 0, s24
	v_mov_b32_e32 v123, v1
	v_rcp_iflag_f32_e32 v2, v2
	v_mul_f32_e32 v2, 0x4f7ffffe, v2
	v_cvt_u32_f32_e32 v2, v2
	v_mul_lo_u32 v3, s26, v2
	v_mul_hi_u32 v3, v2, v3
	v_add_u32_e32 v2, v2, v3
	v_mul_hi_u32 v2, v6, v2
	v_mul_lo_u32 v3, v2, s24
	v_add_u32_e32 v8, 1, v2
	v_sub_u32_e32 v3, v6, v3
	v_subrev_u32_e32 v9, s24, v3
	v_cmp_le_u32_e32 vcc, s24, v3
	v_cndmask_b32_e32 v3, v3, v9, vcc
	v_cndmask_b32_e32 v2, v2, v8, vcc
	v_add_u32_e32 v8, 1, v2
	v_cmp_le_u32_e32 vcc, s24, v3
	v_cndmask_b32_e32 v122, v2, v8, vcc
.LBB0_6:                                ;   in Loop: Header=BB0_2 Depth=1
	s_or_b64 exec, exec, s[0:1]
	v_mul_lo_u32 v8, v123, s24
	v_mul_lo_u32 v9, v122, s25
	v_mad_u64_u32 v[2:3], s[0:1], v122, s24, 0
	s_load_dwordx2 s[0:1], s[6:7], 0x0
	s_load_dwordx2 s[24:25], s[2:3], 0x0
	v_add3_u32 v3, v3, v9, v8
	v_sub_co_u32_e32 v2, vcc, v6, v2
	v_subb_co_u32_e32 v3, vcc, v7, v3, vcc
	s_waitcnt lgkmcnt(0)
	v_mul_lo_u32 v6, s0, v3
	v_mul_lo_u32 v7, s1, v2
	v_mad_u64_u32 v[4:5], s[0:1], s0, v2, v[4:5]
	v_mul_lo_u32 v3, s24, v3
	v_mul_lo_u32 v8, s25, v2
	v_mad_u64_u32 v[120:121], s[0:1], s24, v2, v[120:121]
	s_add_u32 s22, s22, 1
	s_addc_u32 s23, s23, 0
	s_add_u32 s2, s2, 8
	v_add3_u32 v121, v8, v121, v3
	s_addc_u32 s3, s3, 0
	v_mov_b32_e32 v2, s14
	s_add_u32 s6, s6, 8
	v_mov_b32_e32 v3, s15
	s_addc_u32 s7, s7, 0
	v_cmp_ge_u64_e32 vcc, s[22:23], v[2:3]
	s_add_u32 s20, s20, 8
	v_add3_u32 v5, v7, v5, v6
	s_addc_u32 s21, s21, 0
	s_cbranch_vccnz .LBB0_9
; %bb.7:                                ;   in Loop: Header=BB0_2 Depth=1
	v_mov_b32_e32 v6, v122
	v_mov_b32_e32 v7, v123
	s_branch .LBB0_2
.LBB0_8:
	v_mov_b32_e32 v121, v5
	v_mov_b32_e32 v123, v7
	;; [unrolled: 1-line block ×4, first 2 shown]
.LBB0_9:
	s_load_dwordx2 s[0:1], s[4:5], 0x28
	s_lshl_b64 s[6:7], s[14:15], 3
	s_add_u32 s2, s18, s6
	s_addc_u32 s3, s19, s7
                                        ; implicit-def: $vgpr156
	s_waitcnt lgkmcnt(0)
	v_cmp_gt_u64_e32 vcc, s[0:1], v[122:123]
	v_cmp_le_u64_e64 s[0:1], s[0:1], v[122:123]
	s_and_saveexec_b64 s[4:5], s[0:1]
	s_xor_b64 s[0:1], exec, s[4:5]
; %bb.10:
	s_mov_b32 s4, 0x2222223
	v_mul_hi_u32 v1, v0, s4
                                        ; implicit-def: $vgpr4_vgpr5
	v_mul_u32_u24_e32 v1, 0x78, v1
	v_sub_u32_e32 v156, v0, v1
                                        ; implicit-def: $vgpr0
; %bb.11:
	s_or_saveexec_b64 s[4:5], s[0:1]
                                        ; implicit-def: $vgpr26_vgpr27
                                        ; implicit-def: $vgpr34_vgpr35
                                        ; implicit-def: $vgpr14_vgpr15
                                        ; implicit-def: $vgpr38_vgpr39
                                        ; implicit-def: $vgpr18_vgpr19
                                        ; implicit-def: $vgpr30_vgpr31
                                        ; implicit-def: $vgpr6_vgpr7
                                        ; implicit-def: $vgpr22_vgpr23
                                        ; implicit-def: $vgpr2_vgpr3
                                        ; implicit-def: $vgpr10_vgpr11
                                        ; implicit-def: $vgpr106_vgpr107
                                        ; implicit-def: $vgpr110_vgpr111
                                        ; implicit-def: $vgpr98_vgpr99
                                        ; implicit-def: $vgpr114_vgpr115
                                        ; implicit-def: $vgpr94_vgpr95
                                        ; implicit-def: $vgpr102_vgpr103
                                        ; implicit-def: $vgpr78_vgpr79
                                        ; implicit-def: $vgpr118_vgpr119
                                        ; implicit-def: $vgpr54_vgpr55
                                        ; implicit-def: $vgpr42_vgpr43
                                        ; implicit-def: $vgpr74_vgpr75
                                        ; implicit-def: $vgpr82_vgpr83
                                        ; implicit-def: $vgpr70_vgpr71
                                        ; implicit-def: $vgpr90_vgpr91
                                        ; implicit-def: $vgpr66_vgpr67
                                        ; implicit-def: $vgpr86_vgpr87
                                        ; implicit-def: $vgpr46_vgpr47
                                        ; implicit-def: $vgpr50_vgpr51
                                        ; implicit-def: $vgpr62_vgpr63
                                        ; implicit-def: $vgpr58_vgpr59
	s_xor_b64 exec, exec, s[4:5]
	s_cbranch_execz .LBB0_13
; %bb.12:
	s_add_u32 s0, s16, s6
	s_addc_u32 s1, s17, s7
	s_load_dwordx2 s[0:1], s[0:1], 0x0
	s_mov_b32 s6, 0x2222223
	v_mul_hi_u32 v3, v0, s6
	s_waitcnt lgkmcnt(0)
	v_mul_lo_u32 v6, s1, v122
	v_mul_lo_u32 v7, s0, v123
	v_mad_u64_u32 v[1:2], s[0:1], s0, v122, 0
	v_mul_u32_u24_e32 v3, 0x78, v3
	v_sub_u32_e32 v156, v0, v3
	v_add3_u32 v2, v2, v7, v6
	v_lshlrev_b64 v[0:1], 4, v[1:2]
	v_mov_b32_e32 v2, s9
	v_add_co_u32_e64 v3, s[0:1], s8, v0
	v_addc_co_u32_e64 v2, s[0:1], v2, v1, s[0:1]
	v_lshlrev_b64 v[0:1], 4, v[4:5]
	v_add_co_u32_e64 v0, s[0:1], v3, v0
	v_addc_co_u32_e64 v1, s[0:1], v2, v1, s[0:1]
	v_lshlrev_b32_e32 v2, 4, v156
	v_add_co_u32_e64 v24, s[0:1], v0, v2
	v_addc_co_u32_e64 v25, s[0:1], 0, v1, s[0:1]
	s_movk_i32 s0, 0x1000
	v_add_co_u32_e64 v26, s[0:1], s0, v24
	v_addc_co_u32_e64 v27, s[0:1], 0, v25, s[0:1]
	s_movk_i32 s0, 0x2000
	;; [unrolled: 3-line block ×5, first 2 shown]
	v_add_co_u32_e64 v38, s[0:1], s0, v24
	v_addc_co_u32_e64 v39, s[0:1], 0, v25, s[0:1]
	s_mov_b32 s0, 0x8000
	v_add_co_u32_e64 v104, s[0:1], s0, v24
	v_addc_co_u32_e64 v105, s[0:1], 0, v25, s[0:1]
	s_mov_b32 s0, 0x9000
	;; [unrolled: 3-line block ×4, first 2 shown]
	v_add_co_u32_e64 v126, s[0:1], s0, v24
	v_addc_co_u32_e64 v127, s[0:1], 0, v25, s[0:1]
	s_movk_i32 s0, 0x3000
	v_add_co_u32_e64 v128, s[0:1], s0, v24
	v_addc_co_u32_e64 v129, s[0:1], 0, v25, s[0:1]
	s_movk_i32 s0, 0x6000
	v_add_co_u32_e64 v68, s[0:1], s0, v24
	v_addc_co_u32_e64 v69, s[0:1], 0, v25, s[0:1]
	v_or_b32_e32 v2, 0x7800, v2
	v_add_co_u32_e64 v70, s[0:1], v0, v2
	v_addc_co_u32_e64 v71, s[0:1], 0, v1, s[0:1]
	s_mov_b32 s0, 0xa000
	v_add_co_u32_e64 v72, s[0:1], s0, v24
	v_addc_co_u32_e64 v73, s[0:1], 0, v25, s[0:1]
	s_mov_b32 s0, 0xd000
	v_add_co_u32_e64 v130, s[0:1], s0, v24
	global_load_dwordx4 v[48:51], v[32:33], off offset:3328
	global_load_dwordx4 v[44:47], v[34:35], off offset:896
	global_load_dwordx4 v[56:59], v[24:25], off
	global_load_dwordx4 v[40:43], v[24:25], off offset:1920
	v_addc_co_u32_e64 v131, s[0:1], 0, v25, s[0:1]
	global_load_dwordx4 v[60:63], v[26:27], off offset:1664
	global_load_dwordx4 v[8:11], v[24:25], off offset:3840
	;; [unrolled: 1-line block ×8, first 2 shown]
	global_load_dwordx4 v[92:95], v[70:71], off
	global_load_dwordx4 v[28:31], v[68:69], off offset:2304
	global_load_dwordx4 v[84:87], v[36:37], off offset:2560
	;; [unrolled: 1-line block ×6, first 2 shown]
                                        ; kill: killed $vgpr72 killed $vgpr73
                                        ; kill: killed $vgpr70 killed $vgpr71
                                        ; kill: killed $vgpr38 killed $vgpr39
                                        ; kill: killed $vgpr36 killed $vgpr37
                                        ; kill: killed $vgpr34 killed $vgpr35
                                        ; kill: killed $vgpr24 killed $vgpr25
                                        ; kill: killed $vgpr32 killed $vgpr33
                                        ; kill: killed $vgpr68 killed $vgpr69
                                        ; kill: killed $vgpr26 killed $vgpr27
	global_load_dwordx4 v[88:91], v[104:105], off offset:1792
	global_load_dwordx4 v[112:115], v[104:105], off offset:3712
	s_nop 0
	global_load_dwordx4 v[36:39], v[106:107], off offset:1536
	global_load_dwordx4 v[68:71], v[106:107], off offset:3456
	;; [unrolled: 1-line block ×6, first 2 shown]
                                        ; kill: killed $vgpr128 killed $vgpr129
                                        ; kill: killed $vgpr124 killed $vgpr125
                                        ; kill: killed $vgpr106 killed $vgpr107
                                        ; kill: killed $vgpr104 killed $vgpr105
	global_load_dwordx4 v[32:35], v[126:127], off offset:768
	global_load_dwordx4 v[104:107], v[130:131], off offset:512
                                        ; kill: killed $vgpr126 killed $vgpr127
	global_load_dwordx4 v[24:27], v[130:131], off offset:2432
.LBB0_13:
	s_or_b64 exec, exec, s[4:5]
	s_waitcnt vmcnt(27)
	v_add_f64 v[124:125], v[48:49], v[56:57]
	v_add_f64 v[126:127], v[50:51], v[58:59]
	s_waitcnt vmcnt(10)
	v_add_f64 v[128:129], v[88:89], v[84:85]
	v_add_f64 v[132:133], v[48:49], -v[84:85]
	v_add_f64 v[134:135], v[84:85], -v[48:49]
	;; [unrolled: 1-line block ×4, first 2 shown]
	v_add_f64 v[136:137], v[90:91], v[86:87]
	v_add_f64 v[84:85], v[84:85], v[124:125]
	;; [unrolled: 1-line block ×3, first 2 shown]
	v_add_f64 v[126:127], v[50:51], -v[86:87]
	v_add_f64 v[140:141], v[86:87], -v[50:51]
	s_waitcnt vmcnt(6)
	v_add_f64 v[86:87], v[50:51], -v[82:83]
	v_add_f64 v[50:51], v[82:83], v[50:51]
	v_add_f64 v[146:147], v[82:83], -v[90:91]
	v_add_f64 v[148:149], v[90:91], -v[82:83]
	v_add_f64 v[84:85], v[88:89], v[84:85]
	v_add_f64 v[124:125], v[90:91], v[124:125]
	;; [unrolled: 1-line block ×5, first 2 shown]
	v_fma_f64 v[50:51], v[50:51], -0.5, v[58:59]
	v_add_f64 v[48:49], v[48:49], -v[80:81]
	v_add_f64 v[144:145], v[80:81], -v[88:89]
	v_add_f64 v[88:89], v[88:89], -v[80:81]
	v_add_f64 v[124:125], v[82:83], v[124:125]
	v_fma_f64 v[82:83], v[128:129], -0.5, v[56:57]
	v_fma_f64 v[128:129], v[136:137], -0.5, v[58:59]
	v_add_f64 v[58:59], v[64:65], v[90:91]
	v_add_f64 v[80:81], v[80:81], v[84:85]
	;; [unrolled: 1-line block ×4, first 2 shown]
	v_fma_f64 v[56:57], v[142:143], -0.5, v[56:57]
	v_add_f64 v[136:137], v[66:67], -v[70:71]
	v_add_f64 v[142:143], v[44:45], -v[64:65]
	;; [unrolled: 1-line block ×3, first 2 shown]
	v_add_f64 v[58:59], v[68:69], v[58:59]
	v_add_f64 v[152:153], v[70:71], v[66:67]
	v_add_f64 v[64:65], v[64:65], -v[68:69]
	v_add_f64 v[154:155], v[46:47], -v[66:67]
	v_add_f64 v[66:67], v[66:67], -v[46:47]
	s_waitcnt vmcnt(4)
	v_add_f64 v[157:158], v[46:47], -v[74:75]
	v_add_f64 v[159:160], v[72:73], v[44:45]
	v_add_f64 v[84:85], v[70:71], v[84:85]
	v_add_f64 v[44:45], v[44:45], -v[72:73]
	v_add_f64 v[46:47], v[74:75], v[46:47]
	v_add_f64 v[161:162], v[72:73], -v[68:69]
	v_add_f64 v[68:69], v[68:69], -v[72:73]
	v_add_f64 v[58:59], v[72:73], v[58:59]
	v_fma_f64 v[72:73], v[90:91], -0.5, v[60:61]
	s_mov_b32 s6, 0x134454ff
	s_mov_b32 s7, 0xbfee6f0e
	;; [unrolled: 1-line block ×4, first 2 shown]
	v_add_f64 v[163:164], v[74:75], -v[70:71]
	v_add_f64 v[70:71], v[70:71], -v[74:75]
	v_add_f64 v[165:166], v[74:75], v[84:85]
	v_fma_f64 v[60:61], v[159:160], -0.5, v[60:61]
	v_fma_f64 v[74:75], v[152:153], -0.5, v[62:63]
	;; [unrolled: 1-line block ×3, first 2 shown]
	v_add_f64 v[62:63], v[144:145], v[132:133]
	v_fma_f64 v[84:85], v[86:87], s[6:7], v[82:83]
	v_fma_f64 v[82:83], v[86:87], s[0:1], v[82:83]
	;; [unrolled: 1-line block ×4, first 2 shown]
	s_mov_b32 s8, 0x4755a5e
	s_mov_b32 s9, 0xbfe2cf23
	;; [unrolled: 1-line block ×4, first 2 shown]
	v_fma_f64 v[90:91], v[130:131], s[0:1], v[56:57]
	v_fma_f64 v[56:57], v[130:131], s[6:7], v[56:57]
	;; [unrolled: 1-line block ×4, first 2 shown]
	v_add_f64 v[88:89], v[88:89], v[134:135]
	v_fma_f64 v[130:131], v[136:137], s[8:9], v[132:133]
	v_fma_f64 v[72:73], v[136:137], s[4:5], v[72:73]
	;; [unrolled: 1-line block ×9, first 2 shown]
	v_add_f64 v[86:87], v[161:162], v[142:143]
	v_add_f64 v[142:143], v[163:164], v[154:155]
	v_fma_f64 v[74:75], v[44:45], s[6:7], v[74:75]
	v_fma_f64 v[134:135], v[64:65], s[4:5], v[134:135]
	v_add_f64 v[66:67], v[70:71], v[66:67]
	v_fma_f64 v[70:71], v[44:45], s[4:5], v[136:137]
	v_fma_f64 v[44:45], v[44:45], s[8:9], v[46:47]
	s_mov_b32 s14, 0x372fe950
	s_mov_b32 s15, 0x3fd3c6ef
	v_fma_f64 v[84:85], v[62:63], s[14:15], v[84:85]
	v_fma_f64 v[136:137], v[62:63], s[14:15], v[82:83]
	v_add_f64 v[46:47], v[68:69], v[150:151]
	v_fma_f64 v[62:63], v[157:158], s[8:9], v[132:133]
	v_fma_f64 v[64:65], v[64:65], s[8:9], v[74:75]
	;; [unrolled: 1-line block ×7, first 2 shown]
	s_mov_b32 s16, 0x9b97f4a8
	v_fma_f64 v[130:131], v[46:47], s[14:15], v[62:63]
	v_fma_f64 v[64:65], v[142:143], s[14:15], v[64:65]
	v_mul_f64 v[62:63], v[68:69], s[8:9]
	v_mul_f64 v[74:75], v[70:71], s[6:7]
	v_fma_f64 v[46:47], v[46:47], s[14:15], v[60:61]
	v_mul_f64 v[60:61], v[44:45], s[6:7]
	s_mov_b32 s17, 0x3fe9e377
	s_mov_b32 s19, 0xbfd3c6ef
	;; [unrolled: 1-line block ×3, first 2 shown]
	v_fma_f64 v[82:83], v[88:89], s[14:15], v[90:91]
	v_fma_f64 v[56:57], v[88:89], s[14:15], v[56:57]
	;; [unrolled: 1-line block ×3, first 2 shown]
	v_mul_f64 v[72:73], v[64:65], s[8:9]
	v_fma_f64 v[86:87], v[66:67], s[16:17], v[62:63]
	v_fma_f64 v[88:89], v[130:131], s[14:15], v[74:75]
	;; [unrolled: 1-line block ×3, first 2 shown]
	s_mov_b32 s21, 0xbfe9e377
	s_mov_b32 s20, s16
	v_add_f64 v[60:61], v[58:59], v[80:81]
	v_add_f64 v[126:127], v[146:147], v[126:127]
	v_fma_f64 v[142:143], v[132:133], s[20:21], v[72:73]
	v_add_f64 v[62:63], v[84:85], v[86:87]
	v_add_f64 v[72:73], v[84:85], -v[86:87]
	v_add_f64 v[74:75], v[82:83], -v[88:89]
	v_add_f64 v[88:89], v[82:83], v[88:89]
	v_add_f64 v[90:91], v[56:57], v[134:135]
	v_add_f64 v[82:83], v[80:81], -v[58:59]
	v_fma_f64 v[58:59], v[48:49], s[0:1], v[128:129]
	v_add_f64 v[84:85], v[56:57], -v[134:135]
	v_fma_f64 v[56:57], v[138:139], s[6:7], v[50:51]
	v_fma_f64 v[128:129], v[48:49], s[6:7], v[128:129]
	;; [unrolled: 1-line block ×3, first 2 shown]
	v_add_f64 v[134:135], v[148:149], v[140:141]
	v_mul_f64 v[66:67], v[66:67], s[4:5]
	v_mul_f64 v[130:131], v[130:131], s[0:1]
	v_fma_f64 v[58:59], v[138:139], s[4:5], v[58:59]
	v_add_f64 v[80:81], v[136:137], v[142:143]
	v_fma_f64 v[56:57], v[48:49], s[4:5], v[56:57]
	v_fma_f64 v[128:129], v[138:139], s[8:9], v[128:129]
	;; [unrolled: 1-line block ×3, first 2 shown]
	v_mul_f64 v[50:51], v[64:65], s[20:21]
	v_add_f64 v[86:87], v[136:137], -v[142:143]
	v_mul_f64 v[44:45], v[44:45], s[18:19]
	v_fma_f64 v[58:59], v[126:127], s[14:15], v[58:59]
	v_fma_f64 v[64:65], v[68:69], s[16:17], v[66:67]
	;; [unrolled: 1-line block ×7, first 2 shown]
	v_add_f64 v[134:135], v[116:117], v[40:41]
	v_add_f64 v[136:137], v[118:119], v[42:43]
	v_fma_f64 v[130:131], v[46:47], s[0:1], v[44:45]
	v_add_f64 v[48:49], v[165:166], v[124:125]
	v_add_f64 v[50:51], v[58:59], v[64:65]
	v_add_f64 v[44:45], v[58:59], -v[64:65]
	v_add_f64 v[46:47], v[56:57], -v[66:67]
	v_add_f64 v[68:69], v[56:57], v[66:67]
	v_add_f64 v[66:67], v[124:125], -v[165:166]
	v_add_f64 v[64:65], v[126:127], v[132:133]
	;; [unrolled: 2-line block ×3, first 2 shown]
	v_add_f64 v[126:127], v[102:103], v[136:137]
	v_add_f64 v[70:71], v[128:129], v[130:131]
	v_add_f64 v[56:57], v[128:129], -v[130:131]
	v_add_f64 v[128:129], v[112:113], v[100:101]
	v_add_f64 v[130:131], v[102:103], -v[114:115]
	v_add_f64 v[132:133], v[116:117], -v[100:101]
	;; [unrolled: 1-line block ×3, first 2 shown]
	v_add_f64 v[136:137], v[114:115], v[102:103]
	v_add_f64 v[138:139], v[100:101], -v[112:113]
	v_add_f64 v[140:141], v[118:119], -v[102:103]
	;; [unrolled: 1-line block ×3, first 2 shown]
	s_waitcnt vmcnt(3)
	v_add_f64 v[100:101], v[118:119], -v[110:111]
	v_add_f64 v[102:103], v[108:109], v[116:117]
	v_add_f64 v[118:119], v[110:111], v[118:119]
	;; [unrolled: 1-line block ×6, first 2 shown]
	v_add_f64 v[116:117], v[116:117], -v[108:109]
	v_add_f64 v[144:145], v[108:109], -v[112:113]
	;; [unrolled: 1-line block ×5, first 2 shown]
	v_add_f64 v[108:109], v[108:109], v[124:125]
	v_add_f64 v[124:125], v[110:111], v[126:127]
	v_fma_f64 v[110:111], v[128:129], -0.5, v[40:41]
	v_fma_f64 v[40:41], v[102:103], -0.5, v[40:41]
	v_fma_f64 v[126:127], v[136:137], -0.5, v[42:43]
	v_fma_f64 v[118:119], v[118:119], -0.5, v[42:43]
	v_add_f64 v[42:43], v[92:93], v[148:149]
	v_add_f64 v[102:103], v[94:95], v[150:151]
	;; [unrolled: 1-line block ×3, first 2 shown]
	v_add_f64 v[136:137], v[94:95], -v[98:99]
	v_add_f64 v[152:153], v[98:99], v[94:95]
	v_add_f64 v[154:155], v[78:79], -v[94:95]
	v_add_f64 v[94:95], v[94:95], -v[78:79]
	s_waitcnt vmcnt(1)
	v_add_f64 v[157:158], v[78:79], -v[106:107]
	v_add_f64 v[42:43], v[96:97], v[42:43]
	v_add_f64 v[102:103], v[98:99], v[102:103]
	;; [unrolled: 1-line block ×3, first 2 shown]
	v_add_f64 v[148:149], v[76:77], -v[92:93]
	v_add_f64 v[150:151], v[92:93], -v[76:77]
	;; [unrolled: 1-line block ×3, first 2 shown]
	v_add_f64 v[159:160], v[104:105], v[76:77]
	v_add_f64 v[76:77], v[76:77], -v[104:105]
	v_add_f64 v[161:162], v[104:105], -v[96:97]
	v_add_f64 v[96:97], v[96:97], -v[104:105]
	v_add_f64 v[163:164], v[106:107], -v[98:99]
	v_add_f64 v[98:99], v[98:99], -v[106:107]
	v_add_f64 v[104:105], v[104:105], v[42:43]
	v_add_f64 v[165:166], v[106:107], v[102:103]
	v_fma_f64 v[42:43], v[128:129], -0.5, v[52:53]
	v_fma_f64 v[102:103], v[100:101], s[6:7], v[110:111]
	v_fma_f64 v[106:107], v[100:101], s[0:1], v[110:111]
	v_fma_f64 v[128:129], v[152:153], -0.5, v[54:55]
	v_fma_f64 v[54:55], v[78:79], -0.5, v[54:55]
	;; [unrolled: 1-line block ×3, first 2 shown]
	v_fma_f64 v[110:111], v[130:131], s[0:1], v[40:41]
	v_fma_f64 v[40:41], v[130:131], s[6:7], v[40:41]
	v_add_f64 v[112:113], v[112:113], v[134:135]
	v_fma_f64 v[102:103], v[130:131], s[8:9], v[102:103]
	v_fma_f64 v[106:107], v[130:131], s[4:5], v[106:107]
	;; [unrolled: 1-line block ×5, first 2 shown]
	v_add_f64 v[78:79], v[144:145], v[132:133]
	v_fma_f64 v[110:111], v[100:101], s[8:9], v[110:111]
	v_fma_f64 v[40:41], v[100:101], s[4:5], v[40:41]
	v_add_f64 v[100:101], v[161:162], v[148:149]
	v_fma_f64 v[132:133], v[157:158], s[6:7], v[42:43]
	v_fma_f64 v[144:145], v[136:137], s[0:1], v[52:53]
	;; [unrolled: 1-line block ×3, first 2 shown]
	v_add_f64 v[148:149], v[163:164], v[154:155]
	v_fma_f64 v[130:131], v[92:93], s[4:5], v[130:131]
	v_add_f64 v[94:95], v[98:99], v[94:95]
	v_fma_f64 v[98:99], v[76:77], s[4:5], v[134:135]
	v_fma_f64 v[52:53], v[136:137], s[6:7], v[52:53]
	;; [unrolled: 1-line block ×6, first 2 shown]
	v_add_f64 v[96:97], v[96:97], v[150:151]
	v_fma_f64 v[128:129], v[148:149], s[14:15], v[130:131]
	v_fma_f64 v[130:131], v[157:158], s[8:9], v[144:145]
	;; [unrolled: 1-line block ×8, first 2 shown]
	v_mul_f64 v[54:55], v[128:129], s[8:9]
	v_fma_f64 v[130:131], v[96:97], s[14:15], v[130:131]
	v_mul_f64 v[76:77], v[98:99], s[6:7]
	v_fma_f64 v[96:97], v[96:97], s[14:15], v[52:53]
	;; [unrolled: 2-line block ×4, first 2 shown]
	v_fma_f64 v[54:55], v[132:133], s[16:17], v[54:55]
	v_fma_f64 v[102:103], v[112:113], s[14:15], v[110:111]
	;; [unrolled: 1-line block ×7, first 2 shown]
	v_add_f64 v[40:41], v[104:105], v[108:109]
	v_add_f64 v[42:43], v[100:101], v[54:55]
	v_add_f64 v[52:53], v[100:101], -v[54:55]
	v_add_f64 v[54:55], v[102:103], -v[76:77]
	v_add_f64 v[76:77], v[102:103], v[76:77]
	v_add_f64 v[78:79], v[110:111], v[112:113]
	v_add_f64 v[102:103], v[108:109], -v[104:105]
	v_fma_f64 v[108:109], v[116:117], s[0:1], v[126:127]
	v_add_f64 v[104:105], v[110:111], -v[112:113]
	v_fma_f64 v[112:113], v[116:117], s[6:7], v[126:127]
	v_fma_f64 v[110:111], v[138:139], s[6:7], v[118:119]
	;; [unrolled: 1-line block ×3, first 2 shown]
	v_add_f64 v[126:127], v[146:147], v[140:141]
	v_mul_f64 v[132:133], v[132:133], s[4:5]
	v_mul_f64 v[92:93], v[92:93], s[20:21]
	v_fma_f64 v[108:109], v[138:139], s[4:5], v[108:109]
	v_add_f64 v[100:101], v[106:107], v[136:137]
	v_fma_f64 v[112:113], v[138:139], s[8:9], v[112:113]
	v_add_f64 v[106:107], v[106:107], -v[136:137]
	v_add_f64 v[114:115], v[114:115], v[142:143]
	v_fma_f64 v[110:111], v[116:117], s[4:5], v[110:111]
	v_mul_f64 v[130:131], v[130:131], s[0:1]
	v_fma_f64 v[116:117], v[116:117], s[8:9], v[118:119]
	v_mul_f64 v[94:95], v[94:95], s[18:19]
	v_fma_f64 v[108:109], v[126:127], s[14:15], v[108:109]
	v_fma_f64 v[118:119], v[128:129], s[16:17], v[132:133]
	;; [unrolled: 1-line block ×4, first 2 shown]
	v_add_f64 v[134:135], v[20:21], v[8:9]
	v_add_f64 v[136:137], v[22:23], v[10:11]
	v_fma_f64 v[110:111], v[114:115], s[14:15], v[110:111]
	v_fma_f64 v[128:129], v[98:99], s[14:15], v[130:131]
	;; [unrolled: 1-line block ×4, first 2 shown]
	v_add_f64 v[96:97], v[165:166], v[124:125]
	v_add_f64 v[98:99], v[108:109], v[118:119]
	v_add_f64 v[92:93], v[108:109], -v[118:119]
	v_add_f64 v[114:115], v[124:125], -v[165:166]
	v_add_f64 v[112:113], v[126:127], v[132:133]
	v_add_f64 v[118:119], v[126:127], -v[132:133]
	v_add_f64 v[124:125], v[28:29], v[134:135]
	v_add_f64 v[126:127], v[30:31], v[136:137]
	v_add_f64 v[94:95], v[110:111], -v[128:129]
	v_add_f64 v[108:109], v[110:111], v[128:129]
	;; [unrolled: 3-line block ×3, first 2 shown]
	v_add_f64 v[130:131], v[30:31], -v[38:39]
	v_add_f64 v[136:137], v[38:39], v[30:31]
	v_add_f64 v[138:139], v[22:23], -v[30:31]
	v_add_f64 v[30:31], v[30:31], -v[22:23]
	;; [unrolled: 1-line block ×3, first 2 shown]
	v_add_f64 v[22:23], v[34:35], v[22:23]
	v_add_f64 v[124:125], v[36:37], v[124:125]
	;; [unrolled: 1-line block ×5, first 2 shown]
	v_add_f64 v[132:133], v[20:21], -v[28:29]
	v_add_f64 v[134:135], v[28:29], -v[20:21]
	;; [unrolled: 1-line block ×3, first 2 shown]
	v_add_f64 v[142:143], v[32:33], v[20:21]
	v_add_f64 v[20:21], v[20:21], -v[32:33]
	v_add_f64 v[144:145], v[32:33], -v[36:37]
	;; [unrolled: 1-line block ×5, first 2 shown]
	v_add_f64 v[32:33], v[32:33], v[124:125]
	v_add_f64 v[34:35], v[34:35], v[126:127]
	v_fma_f64 v[124:125], v[128:129], -0.5, v[8:9]
	v_fma_f64 v[126:127], v[136:137], -0.5, v[10:11]
	;; [unrolled: 1-line block ×3, first 2 shown]
	v_add_f64 v[10:11], v[16:17], v[148:149]
	v_add_f64 v[128:129], v[18:19], v[150:151]
	v_fma_f64 v[8:9], v[142:143], -0.5, v[8:9]
	v_add_f64 v[136:137], v[12:13], v[16:17]
	v_add_f64 v[142:143], v[18:19], -v[14:15]
	v_add_f64 v[152:153], v[14:15], v[18:19]
	v_add_f64 v[154:155], v[6:7], -v[18:19]
	v_add_f64 v[18:19], v[18:19], -v[6:7]
	s_waitcnt vmcnt(0)
	v_add_f64 v[157:158], v[6:7], -v[26:27]
	v_add_f64 v[10:11], v[12:13], v[10:11]
	v_add_f64 v[128:129], v[14:15], v[128:129]
	;; [unrolled: 1-line block ×3, first 2 shown]
	v_add_f64 v[148:149], v[4:5], -v[16:17]
	v_add_f64 v[150:151], v[16:17], -v[4:5]
	;; [unrolled: 1-line block ×3, first 2 shown]
	v_add_f64 v[159:160], v[24:25], v[4:5]
	v_add_f64 v[4:5], v[4:5], -v[24:25]
	v_add_f64 v[161:162], v[24:25], -v[12:13]
	;; [unrolled: 1-line block ×5, first 2 shown]
	v_add_f64 v[24:25], v[24:25], v[10:11]
	v_add_f64 v[26:27], v[26:27], v[128:129]
	v_fma_f64 v[10:11], v[136:137], -0.5, v[0:1]
	v_fma_f64 v[128:129], v[140:141], s[6:7], v[124:125]
	v_fma_f64 v[124:125], v[140:141], s[0:1], v[124:125]
	;; [unrolled: 1-line block ×4, first 2 shown]
	v_fma_f64 v[152:153], v[152:153], -0.5, v[2:3]
	v_fma_f64 v[2:3], v[6:7], -0.5, v[2:3]
	;; [unrolled: 1-line block ×3, first 2 shown]
	v_add_f64 v[6:7], v[144:145], v[132:133]
	v_fma_f64 v[128:129], v[130:131], s[8:9], v[128:129]
	v_fma_f64 v[124:125], v[130:131], s[4:5], v[124:125]
	v_fma_f64 v[130:131], v[140:141], s[8:9], v[136:137]
	v_fma_f64 v[8:9], v[140:141], s[4:5], v[8:9]
	v_add_f64 v[36:37], v[36:37], v[134:135]
	v_fma_f64 v[140:141], v[16:17], s[6:7], v[2:3]
	v_add_f64 v[132:133], v[161:162], v[148:149]
	v_fma_f64 v[134:135], v[4:5], s[0:1], v[152:153]
	v_fma_f64 v[2:3], v[16:17], s[0:1], v[2:3]
	;; [unrolled: 1-line block ×5, first 2 shown]
	v_add_f64 v[14:15], v[14:15], v[18:19]
	v_fma_f64 v[18:19], v[4:5], s[4:5], v[140:141]
	v_fma_f64 v[10:11], v[157:158], s[0:1], v[10:11]
	v_add_f64 v[152:153], v[163:164], v[154:155]
	v_fma_f64 v[134:135], v[16:17], s[4:5], v[134:135]
	v_fma_f64 v[0:1], v[142:143], s[6:7], v[0:1]
	;; [unrolled: 1-line block ×5, first 2 shown]
	v_add_f64 v[12:13], v[12:13], v[150:151]
	v_fma_f64 v[136:137], v[157:158], s[8:9], v[144:145]
	v_fma_f64 v[140:141], v[14:15], s[14:15], v[18:19]
	;; [unrolled: 1-line block ×9, first 2 shown]
	v_mul_f64 v[10:11], v[140:141], s[6:7]
	v_mul_f64 v[4:5], v[134:135], s[8:9]
	v_fma_f64 v[150:151], v[12:13], s[14:15], v[0:1]
	v_mul_f64 v[0:1], v[144:145], s[6:7]
	v_fma_f64 v[132:133], v[132:133], s[14:15], v[2:3]
	;; [unrolled: 2-line block ×3, first 2 shown]
	v_fma_f64 v[12:13], v[6:7], s[14:15], v[128:129]
	v_fma_f64 v[10:11], v[136:137], s[14:15], v[10:11]
	;; [unrolled: 1-line block ×7, first 2 shown]
	v_add_f64 v[0:1], v[24:25], v[32:33]
	v_add_f64 v[30:31], v[38:39], v[30:31]
	v_add_f64 v[6:7], v[14:15], -v[10:11]
	v_add_f64 v[8:9], v[14:15], v[10:11]
	v_add_f64 v[14:15], v[32:33], -v[24:25]
	v_fma_f64 v[32:33], v[28:29], s[6:7], v[22:23]
	v_fma_f64 v[22:23], v[28:29], s[0:1], v[22:23]
	v_add_f64 v[2:3], v[12:13], v[4:5]
	v_add_f64 v[4:5], v[12:13], -v[4:5]
	v_add_f64 v[10:11], v[16:17], v[18:19]
	v_fma_f64 v[24:25], v[20:21], s[0:1], v[126:127]
	v_add_f64 v[12:13], v[36:37], v[124:125]
	v_add_f64 v[16:17], v[16:17], -v[18:19]
	v_add_f64 v[18:19], v[36:37], -v[124:125]
	v_fma_f64 v[124:125], v[20:21], s[6:7], v[126:127]
	v_mul_f64 v[38:39], v[148:149], s[4:5]
	v_fma_f64 v[32:33], v[20:21], s[4:5], v[32:33]
	v_mul_f64 v[126:127], v[136:137], s[0:1]
	;; [unrolled: 2-line block ×3, first 2 shown]
	v_add_f64 v[36:37], v[146:147], v[138:139]
	v_fma_f64 v[24:25], v[28:29], s[4:5], v[24:25]
	v_fma_f64 v[28:29], v[28:29], s[8:9], v[124:125]
	v_mul_f64 v[124:125], v[142:143], s[20:21]
	v_fma_f64 v[38:39], v[134:135], s[16:17], v[38:39]
	v_fma_f64 v[32:33], v[30:31], s[14:15], v[32:33]
	;; [unrolled: 1-line block ×8, first 2 shown]
	s_movk_i32 s22, 0xffb8
	v_add_f64 v[124:125], v[26:27], v[34:35]
	v_add_f64 v[130:131], v[32:33], -v[134:135]
	v_add_f64 v[132:133], v[32:33], v[134:135]
	v_add_f64 v[134:135], v[20:21], v[22:23]
	v_add_f64 v[140:141], v[20:21], -v[22:23]
	v_mul_u32_u24_e32 v20, 10, v156
	v_lshl_add_u32 v144, v20, 3, 0
	ds_write_b128 v144, v[60:63]
	ds_write_b128 v144, v[88:91] offset:16
	v_mad_i32_i24 v157, v156, s22, v144
	s_load_dwordx2 s[2:3], s[2:3], 0x0
	ds_write_b128 v144, v[80:83] offset:32
	ds_write_b128 v144, v[72:75] offset:48
	;; [unrolled: 1-line block ×13, first 2 shown]
	v_add_u32_e32 v159, 0x400, v157
	v_add_u32_e32 v90, 0x1400, v157
	;; [unrolled: 1-line block ×10, first 2 shown]
	s_movk_i32 s22, 0xcd
	v_add_f64 v[126:127], v[24:25], v[38:39]
	v_add_f64 v[128:129], v[24:25], -v[38:39]
	v_add_f64 v[138:139], v[34:35], -v[26:27]
	v_add_f64 v[136:137], v[28:29], v[30:31]
	v_add_f64 v[142:143], v[28:29], -v[30:31]
	s_waitcnt lgkmcnt(0)
	s_barrier
	ds_read2_b64 v[4:7], v157 offset1:120
	ds_read2_b64 v[0:3], v159 offset0:112 offset1:232
	ds_read2_b64 v[76:79], v90 offset0:80 offset1:200
	;; [unrolled: 1-line block ×9, first 2 shown]
	v_add_u32_e32 v106, 0x2400, v157
	v_add_u32_e32 v158, 0x3800, v157
	;; [unrolled: 1-line block ×4, first 2 shown]
	ds_read2_b64 v[40:43], v88 offset0:96 offset1:216
	ds_read2_b64 v[36:39], v106 offset0:48 offset1:168
	;; [unrolled: 1-line block ×5, first 2 shown]
	s_waitcnt lgkmcnt(0)
	s_barrier
	ds_write_b128 v144, v[48:51]
	ds_write_b128 v144, v[68:71] offset:16
	ds_write_b128 v144, v[64:67] offset:32
	;; [unrolled: 1-line block ×14, first 2 shown]
	v_mul_lo_u16_sdwa v44, v156, s22 dst_sel:DWORD dst_unused:UNUSED_PAD src0_sel:BYTE_0 src1_sel:DWORD
	v_lshrrev_b16_e32 v130, 11, v44
	v_mul_lo_u16_e32 v44, 10, v130
	v_sub_u16_e32 v142, v156, v44
	v_mov_b32_e32 v44, 9
	v_mul_u32_u24_sdwa v45, v142, v44 dst_sel:DWORD dst_unused:UNUSED_PAD src0_sel:BYTE_0 src1_sel:DWORD
	v_lshlrev_b32_e32 v56, 4, v45
	s_waitcnt lgkmcnt(0)
	s_barrier
	global_load_dwordx4 v[64:67], v56, s[12:13] offset:16
	v_add_u16_e32 v172, 0x78, v156
	v_mul_lo_u16_sdwa v45, v172, s22 dst_sel:DWORD dst_unused:UNUSED_PAD src0_sel:BYTE_0 src1_sel:DWORD
	v_lshrrev_b16_e32 v124, 11, v45
	v_mul_lo_u16_e32 v45, 10, v124
	v_sub_u16_e32 v125, v172, v45
	v_mul_u32_u24_sdwa v44, v125, v44 dst_sel:DWORD dst_unused:UNUSED_PAD src0_sel:BYTE_0 src1_sel:DWORD
	v_lshlrev_b32_e32 v59, 4, v44
	global_load_dwordx4 v[68:71], v59, s[12:13] offset:16
	global_load_dwordx4 v[91:94], v56, s[12:13] offset:48
	;; [unrolled: 1-line block ×7, first 2 shown]
	global_load_dwordx4 v[143:146], v59, s[12:13]
	s_mov_b32 s22, 0xcccd
	v_add_u32_e32 v173, 0xf0, v156
	v_mul_u32_u24_sdwa v44, v173, s22 dst_sel:DWORD dst_unused:UNUSED_PAD src0_sel:WORD_0 src1_sel:DWORD
	v_lshrrev_b32_e32 v160, 19, v44
	v_mul_lo_u16_e32 v44, 10, v160
	v_sub_u16_e32 v161, v173, v44
	v_mul_u32_u24_e32 v44, 9, v161
	v_lshlrev_b32_e32 v111, 4, v44
	global_load_dwordx4 v[147:150], v111, s[12:13]
	global_load_dwordx4 v[151:154], v56, s[12:13] offset:32
	global_load_dwordx4 v[162:165], v111, s[12:13] offset:16
	;; [unrolled: 1-line block ×4, first 2 shown]
	ds_read2_b64 v[112:115], v90 offset0:80 offset1:200
	global_load_dwordx4 v[178:181], v56, s[12:13] offset:64
	global_load_dwordx4 v[182:185], v111, s[12:13] offset:48
	global_load_dwordx4 v[44:47], v56, s[12:13]
	global_load_dwordx4 v[186:189], v59, s[12:13] offset:64
	global_load_dwordx4 v[202:205], v59, s[12:13] offset:96
	;; [unrolled: 1-line block ×8, first 2 shown]
	ds_read2_b64 v[116:119], v81 offset0:32 offset1:152
	global_load_dwordx4 v[214:217], v111, s[12:13] offset:112
	v_mul_u32_u24_e32 v155, 0x320, v130
	s_waitcnt vmcnt(25) lgkmcnt(1)
	v_mul_f64 v[48:49], v[112:113], v[66:67]
	v_mul_f64 v[50:51], v[76:77], v[66:67]
	s_waitcnt vmcnt(24)
	v_mul_f64 v[57:58], v[114:115], v[70:71]
	v_fma_f64 v[48:49], v[76:77], v[64:65], v[48:49]
	v_fma_f64 v[112:113], v[112:113], v[64:65], -v[50:51]
	v_mul_f64 v[50:51], v[78:79], v[70:71]
	s_waitcnt vmcnt(23) lgkmcnt(0)
	v_mul_f64 v[76:77], v[116:117], v[93:94]
	v_fma_f64 v[100:101], v[78:79], v[68:69], v[57:58]
	s_waitcnt vmcnt(22)
	v_mul_f64 v[57:58], v[118:119], v[97:98]
	v_mul_f64 v[93:94], v[72:73], v[93:94]
	;; [unrolled: 1-line block ×3, first 2 shown]
	ds_read2_b64 v[64:67], v80 offset0:112 offset1:232
	v_fma_f64 v[70:71], v[114:115], v[68:69], -v[50:51]
	v_fma_f64 v[50:51], v[72:73], v[91:92], v[76:77]
	s_waitcnt vmcnt(21)
	v_mul_f64 v[76:77], v[60:61], v[104:105]
	v_fma_f64 v[98:99], v[74:75], v[95:96], v[57:58]
	ds_read2_b64 v[72:75], v89 offset0:64 offset1:184
	v_fma_f64 v[116:117], v[116:117], v[91:92], -v[93:94]
	s_waitcnt vmcnt(18)
	v_mul_f64 v[92:93], v[54:55], v[137:138]
	s_waitcnt lgkmcnt(1)
	v_mul_f64 v[68:69], v[64:65], v[104:105]
	v_fma_f64 v[80:81], v[118:119], v[95:96], -v[78:79]
	s_waitcnt lgkmcnt(0)
	v_mul_f64 v[90:91], v[74:75], v[137:138]
	global_load_dwordx4 v[137:140], v111, s[12:13] offset:128
	v_mul_f64 v[78:79], v[66:67], v[109:110]
	v_fma_f64 v[126:127], v[64:65], v[102:103], -v[76:77]
	v_mul_f64 v[64:65], v[62:63], v[109:110]
	v_mul_f64 v[76:77], v[52:53], v[133:134]
	v_fma_f64 v[56:57], v[60:61], v[102:103], v[68:69]
	ds_read2_b64 v[58:61], v88 offset0:96 offset1:216
	v_mul_f64 v[68:69], v[72:73], v[133:134]
	v_fma_f64 v[104:105], v[54:55], v[135:136], v[90:91]
	v_fma_f64 v[102:103], v[62:63], v[107:108], v[78:79]
	v_fma_f64 v[90:91], v[74:75], v[135:136], -v[92:93]
	s_waitcnt vmcnt(18) lgkmcnt(0)
	v_mul_f64 v[62:63], v[58:59], v[145:146]
	v_fma_f64 v[88:89], v[66:67], v[107:108], -v[64:65]
	v_mul_f64 v[64:65], v[40:41], v[145:146]
	v_fma_f64 v[128:129], v[72:73], v[131:132], -v[76:77]
	v_fma_f64 v[52:53], v[52:53], v[131:132], v[68:69]
	ds_read2_b64 v[66:69], v85 offset0:64 offset1:184
	ds_read2_b64 v[72:75], v106 offset0:48 offset1:168
	s_waitcnt vmcnt(17)
	v_mul_f64 v[76:77], v[60:61], v[149:150]
	v_fma_f64 v[54:55], v[40:41], v[143:144], v[62:63]
	v_mul_f64 v[62:63], v[42:43], v[149:150]
	s_waitcnt vmcnt(16) lgkmcnt(1)
	v_mul_f64 v[78:79], v[68:69], v[153:154]
	v_mul_f64 v[92:93], v[34:35], v[153:154]
	s_waitcnt vmcnt(15)
	v_mul_f64 v[94:95], v[66:67], v[164:165]
	v_fma_f64 v[106:107], v[58:59], v[143:144], -v[64:65]
	s_waitcnt vmcnt(14) lgkmcnt(0)
	v_mul_f64 v[58:59], v[72:73], v[168:169]
	v_mul_f64 v[96:97], v[32:33], v[164:165]
	v_fma_f64 v[40:41], v[42:43], v[147:148], v[76:77]
	v_fma_f64 v[64:65], v[60:61], v[147:148], -v[62:63]
	ds_read2_b64 v[60:63], v84 offset0:16 offset1:136
	v_fma_f64 v[42:43], v[34:35], v[151:152], v[78:79]
	v_fma_f64 v[34:35], v[68:69], v[151:152], -v[92:93]
	v_fma_f64 v[68:69], v[32:33], v[162:163], v[94:95]
	v_mul_f64 v[32:33], v[36:37], v[168:169]
	v_fma_f64 v[36:37], v[36:37], v[166:167], v[58:59]
	s_waitcnt vmcnt(13)
	v_mul_f64 v[58:59], v[74:75], v[176:177]
	s_waitcnt vmcnt(12) lgkmcnt(0)
	v_mul_f64 v[92:93], v[62:63], v[180:181]
	ds_read2_b64 v[76:79], v158 offset0:128 offset1:248
	v_mul_f64 v[94:95], v[26:27], v[180:181]
	v_fma_f64 v[66:67], v[66:67], v[162:163], -v[96:97]
	v_mul_f64 v[84:85], v[38:39], v[176:177]
	s_waitcnt vmcnt(11)
	v_mul_f64 v[96:97], v[60:61], v[184:185]
	v_mul_f64 v[108:109], v[24:25], v[184:185]
	s_waitcnt vmcnt(9) lgkmcnt(0)
	v_mul_f64 v[114:115], v[76:77], v[188:189]
	v_fma_f64 v[110:111], v[72:73], v[166:167], -v[32:33]
	v_fma_f64 v[32:33], v[38:39], v[174:175], v[58:59]
	v_fma_f64 v[58:59], v[26:27], v[178:179], v[92:93]
	v_fma_f64 v[26:27], v[62:63], v[178:179], -v[94:95]
	ds_read2_b64 v[92:95], v86 offset0:96 offset1:216
	v_fma_f64 v[72:73], v[74:75], v[174:175], -v[84:85]
	v_fma_f64 v[84:85], v[24:25], v[182:183], v[96:97]
	v_fma_f64 v[74:75], v[60:61], v[182:183], -v[108:109]
	v_fma_f64 v[38:39], v[28:29], v[186:187], v[114:115]
	v_mul_f64 v[24:25], v[28:29], v[188:189]
	s_waitcnt vmcnt(7)
	v_mul_f64 v[28:29], v[78:79], v[192:193]
	v_mul_f64 v[60:61], v[30:31], v[192:193]
	s_waitcnt vmcnt(5) lgkmcnt(0)
	v_mul_f64 v[62:63], v[94:95], v[196:197]
	v_mul_f64 v[96:97], v[18:19], v[196:197]
	s_waitcnt vmcnt(3)
	v_mul_f64 v[108:109], v[92:93], v[200:201]
	v_mul_f64 v[118:119], v[16:17], v[200:201]
	ds_read2_b64 v[131:134], v87 offset0:80 offset1:200
	ds_read2_b64 v[143:146], v83 offset0:48 offset1:168
	v_fma_f64 v[114:115], v[76:77], v[186:187], -v[24:25]
	v_fma_f64 v[24:25], v[30:31], v[190:191], v[28:29]
	v_fma_f64 v[76:77], v[78:79], v[190:191], -v[60:61]
	v_fma_f64 v[60:61], v[18:19], v[194:195], v[62:63]
	s_waitcnt lgkmcnt(1)
	v_mul_f64 v[28:29], v[131:132], v[204:205]
	v_fma_f64 v[18:19], v[94:95], v[194:195], -v[96:97]
	v_fma_f64 v[94:95], v[16:17], v[198:199], v[108:109]
	v_fma_f64 v[78:79], v[92:93], v[198:199], -v[118:119]
	v_mul_f64 v[16:17], v[20:21], v[204:205]
	s_waitcnt vmcnt(2)
	v_mul_f64 v[30:31], v[133:134], v[208:209]
	v_mul_f64 v[62:63], v[22:23], v[208:209]
	s_waitcnt lgkmcnt(0)
	v_mul_f64 v[92:93], v[145:146], v[212:213]
	v_mul_f64 v[96:97], v[10:11], v[212:213]
	s_waitcnt vmcnt(1)
	v_mul_f64 v[118:119], v[143:144], v[216:217]
	v_mul_f64 v[135:136], v[8:9], v[216:217]
	v_fma_f64 v[28:29], v[20:21], v[202:203], v[28:29]
	v_fma_f64 v[108:109], v[131:132], v[202:203], -v[16:17]
	v_fma_f64 v[20:21], v[22:23], v[206:207], v[30:31]
	v_fma_f64 v[86:87], v[133:134], v[206:207], -v[62:63]
	ds_read2_b64 v[131:134], v82 offset0:32 offset1:152
	v_fma_f64 v[30:31], v[10:11], v[210:211], v[92:93]
	v_fma_f64 v[16:17], v[145:146], v[210:211], -v[96:97]
	v_fma_f64 v[96:97], v[8:9], v[214:215], v[118:119]
	ds_read2_b64 v[8:11], v159 offset0:112 offset1:232
	v_fma_f64 v[82:83], v[143:144], v[214:215], -v[135:136]
	s_waitcnt lgkmcnt(1)
	v_mul_f64 v[22:23], v[131:132], v[220:221]
	v_mul_f64 v[62:63], v[12:13], v[220:221]
	s_waitcnt vmcnt(0)
	v_mul_f64 v[92:93], v[133:134], v[139:140]
	v_mul_f64 v[135:136], v[14:15], v[139:140]
	;; [unrolled: 1-line block ×3, first 2 shown]
	s_waitcnt lgkmcnt(0)
	v_mul_f64 v[46:47], v[10:11], v[46:47]
	v_add_f64 v[143:144], v[48:49], -v[50:51]
	v_add_f64 v[145:146], v[52:53], -v[56:57]
	v_fma_f64 v[22:23], v[12:13], v[218:219], v[22:23]
	v_fma_f64 v[118:119], v[131:132], v[218:219], -v[62:63]
	v_fma_f64 v[12:13], v[14:15], v[137:138], v[92:93]
	v_fma_f64 v[92:93], v[133:134], v[137:138], -v[135:136]
	v_fma_f64 v[10:11], v[10:11], v[44:45], -v[139:140]
	v_fma_f64 v[44:45], v[2:3], v[44:45], v[46:47]
	v_add_f64 v[62:63], v[50:51], v[56:57]
	v_add_f64 v[135:136], v[58:59], v[60:61]
	;; [unrolled: 1-line block ×3, first 2 shown]
	v_add_f64 v[133:134], v[34:35], -v[26:27]
	v_add_f64 v[139:140], v[16:17], -v[18:19]
	v_add_f64 v[143:144], v[4:5], v[48:49]
	v_add_f64 v[147:148], v[112:113], -v[128:129]
	v_add_f64 v[145:146], v[44:45], v[42:43]
	v_fma_f64 v[62:63], v[62:63], -0.5, v[4:5]
	v_fma_f64 v[135:136], v[135:136], -0.5, v[44:45]
	v_add_f64 v[149:150], v[34:35], -v[16:17]
	v_add_f64 v[14:15], v[26:27], v[18:19]
	v_add_f64 v[2:3], v[42:43], -v[58:59]
	v_add_f64 v[131:132], v[30:31], -v[60:61]
	v_add_f64 v[133:134], v[133:134], v[139:140]
	v_add_f64 v[139:140], v[143:144], v[50:51]
	;; [unrolled: 1-line block ×3, first 2 shown]
	v_fma_f64 v[145:146], v[147:148], s[6:7], v[62:63]
	v_add_f64 v[162:163], v[116:117], -v[126:127]
	v_fma_f64 v[164:165], v[149:150], s[6:7], v[135:136]
	v_add_f64 v[166:167], v[26:27], -v[18:19]
	v_fma_f64 v[14:15], v[14:15], -0.5, v[10:11]
	v_add_f64 v[137:138], v[42:43], -v[30:31]
	v_add_f64 v[168:169], v[2:3], v[131:132]
	v_add_f64 v[130:131], v[139:140], v[56:57]
	v_add_f64 v[153:154], v[58:59], -v[60:61]
	v_fma_f64 v[139:140], v[162:163], s[8:9], v[145:146]
	v_add_f64 v[177:178], v[42:43], v[30:31]
	v_fma_f64 v[145:146], v[166:167], s[8:9], v[164:165]
	v_add_f64 v[164:165], v[34:35], v[16:17]
	;; [unrolled: 2-line block ×3, first 2 shown]
	v_add_f64 v[179:180], v[130:131], v[52:53]
	v_add_f64 v[175:176], v[48:49], v[52:53]
	v_fma_f64 v[181:182], v[46:47], s[14:15], v[139:140]
	v_fma_f64 v[44:45], v[177:178], -0.5, v[44:45]
	v_add_f64 v[42:43], v[58:59], -v[42:43]
	v_fma_f64 v[130:131], v[164:165], -0.5, v[10:11]
	v_fma_f64 v[151:152], v[153:154], s[4:5], v[151:152]
	v_add_f64 v[58:59], v[60:61], -v[30:31]
	v_add_f64 v[60:61], v[26:27], -v[34:35]
	v_add_f64 v[139:140], v[18:19], -v[16:17]
	v_fma_f64 v[14:15], v[137:138], s[6:7], v[14:15]
	v_add_f64 v[170:171], v[56:57], -v[52:53]
	v_fma_f64 v[4:5], v[175:176], -0.5, v[4:5]
	v_fma_f64 v[164:165], v[153:154], s[6:7], v[130:131]
	v_fma_f64 v[130:131], v[153:154], s[0:1], v[130:131]
	;; [unrolled: 1-line block ×3, first 2 shown]
	v_add_f64 v[151:152], v[50:51], -v[48:49]
	v_fma_f64 v[175:176], v[166:167], s[0:1], v[44:45]
	v_fma_f64 v[44:45], v[166:167], s[6:7], v[44:45]
	v_add_f64 v[60:61], v[60:61], v[139:140]
	v_fma_f64 v[135:136], v[149:150], s[0:1], v[135:136]
	v_fma_f64 v[139:140], v[137:138], s[4:5], v[164:165]
	;; [unrolled: 1-line block ×5, first 2 shown]
	v_mul_f64 v[145:146], v[2:3], s[8:9]
	v_add_f64 v[151:152], v[151:152], v[170:171]
	v_fma_f64 v[170:171], v[162:163], s[0:1], v[4:5]
	v_fma_f64 v[4:5], v[162:163], s[6:7], v[4:5]
	v_add_f64 v[42:43], v[42:43], v[58:59]
	v_fma_f64 v[58:59], v[149:150], s[8:9], v[175:176]
	v_fma_f64 v[44:45], v[149:150], s[4:5], v[44:45]
	;; [unrolled: 1-line block ×11, first 2 shown]
	v_mul_f64 v[14:15], v[138:139], s[6:7]
	v_mul_f64 v[42:43], v[140:141], s[6:7]
	v_fma_f64 v[130:131], v[168:169], s[14:15], v[62:63]
	v_add_f64 v[30:31], v[143:144], v[30:31]
	v_fma_f64 v[62:63], v[183:184], s[16:17], v[145:146]
	v_fma_f64 v[44:45], v[162:163], s[4:5], v[60:61]
	v_mul_f64 v[58:59], v[136:137], s[8:9]
	v_fma_f64 v[143:144], v[151:152], s[14:15], v[164:165]
	v_fma_f64 v[4:5], v[151:152], s[14:15], v[4:5]
	;; [unrolled: 1-line block ×4, first 2 shown]
	v_add_f64 v[145:146], v[179:180], v[30:31]
	v_add_f64 v[147:148], v[181:182], v[62:63]
	v_fma_f64 v[44:45], v[46:47], s[14:15], v[44:45]
	v_fma_f64 v[46:47], v[130:131], s[20:21], v[58:59]
	v_mov_b32_e32 v174, 3
	v_lshlrev_b32_sdwa v58, v174, v142 dst_sel:DWORD dst_unused:UNUSED_PAD src0_sel:DWORD src1_sel:BYTE_0
	v_add3_u32 v175, 0, v155, v58
	v_add_f64 v[149:150], v[143:144], v[14:15]
	v_add_f64 v[151:152], v[4:5], v[42:43]
	ds_read2_b64 v[58:61], v157 offset1:120
	s_waitcnt lgkmcnt(0)
	s_barrier
	ds_write2_b64 v175, v[145:146], v[147:148] offset1:10
	v_add_f64 v[145:146], v[98:99], v[102:103]
	v_add_f64 v[14:15], v[143:144], -v[14:15]
	v_add_f64 v[4:5], v[4:5], -v[42:43]
	v_add_f64 v[42:43], v[114:115], v[108:109]
	v_add_f64 v[142:143], v[6:7], v[100:101]
	v_add_f64 v[30:31], v[179:180], -v[30:31]
	v_add_f64 v[153:154], v[44:45], v[46:47]
	ds_write2_b64 v175, v[149:150], v[151:152] offset0:20 offset1:30
	ds_write2_b64 v175, v[153:154], v[30:31] offset0:40 offset1:50
	v_add_f64 v[44:45], v[44:45], -v[46:47]
	v_fma_f64 v[46:47], v[145:146], -0.5, v[6:7]
	v_add_f64 v[148:149], v[38:39], v[28:29]
	v_fma_f64 v[42:43], v[42:43], -0.5, v[106:107]
	v_add_f64 v[150:151], v[36:37], -v[22:23]
	v_add_f64 v[152:153], v[110:111], -v[114:115]
	;; [unrolled: 1-line block ×6, first 2 shown]
	v_add_f64 v[142:143], v[142:143], v[98:99]
	v_add_f64 v[30:31], v[181:182], -v[62:63]
	v_add_f64 v[62:63], v[100:101], v[104:105]
	v_add_f64 v[144:145], v[100:101], -v[98:99]
	v_add_f64 v[146:147], v[104:105], -v[102:103]
	v_fma_f64 v[148:149], v[148:149], -0.5, v[54:55]
	v_add_f64 v[168:169], v[110:111], -v[118:119]
	v_fma_f64 v[170:171], v[150:151], s[0:1], v[42:43]
	v_add_f64 v[176:177], v[38:39], -v[28:29]
	v_add_f64 v[178:179], v[152:153], v[154:155]
	v_add_f64 v[152:153], v[54:55], v[36:37]
	v_fma_f64 v[154:155], v[166:167], s[6:7], v[46:47]
	v_add_f64 v[180:181], v[80:81], -v[88:89]
	v_add_f64 v[162:163], v[162:163], v[164:165]
	v_add_f64 v[142:143], v[142:143], v[102:103]
	v_add_f64 v[164:165], v[110:111], v[118:119]
	v_fma_f64 v[185:186], v[168:169], s[6:7], v[148:149]
	v_add_f64 v[187:188], v[114:115], -v[108:109]
	v_fma_f64 v[170:171], v[176:177], s[4:5], v[170:171]
	v_fma_f64 v[6:7], v[62:63], -0.5, v[6:7]
	v_add_f64 v[62:63], v[144:145], v[146:147]
	v_add_f64 v[144:145], v[152:153], v[38:39]
	v_fma_f64 v[146:147], v[180:181], s[8:9], v[154:155]
	v_add_f64 v[189:190], v[36:37], v[22:23]
	v_add_f64 v[193:194], v[142:143], v[104:105]
	v_fma_f64 v[142:143], v[164:165], -0.5, v[106:107]
	v_fma_f64 v[152:153], v[187:188], s[8:9], v[185:186]
	v_fma_f64 v[154:155], v[178:179], s[14:15], v[170:171]
	v_add_f64 v[170:171], v[98:99], -v[100:101]
	v_add_f64 v[185:186], v[102:103], -v[104:105]
	v_add_f64 v[191:192], v[144:145], v[28:29]
	v_fma_f64 v[195:196], v[62:63], s[14:15], v[146:147]
	v_fma_f64 v[54:55], v[189:190], -0.5, v[54:55]
	v_add_f64 v[36:37], v[38:39], -v[36:37]
	v_add_f64 v[38:39], v[114:115], -v[110:111]
	v_add_f64 v[144:145], v[108:109], -v[118:119]
	v_fma_f64 v[146:147], v[176:177], s[6:7], v[142:143]
	v_fma_f64 v[142:143], v[176:177], s[0:1], v[142:143]
	;; [unrolled: 1-line block ×4, first 2 shown]
	v_add_f64 v[170:171], v[170:171], v[185:186]
	v_add_f64 v[28:29], v[28:29], -v[22:23]
	v_fma_f64 v[152:153], v[180:181], s[0:1], v[6:7]
	v_fma_f64 v[185:186], v[187:188], s[0:1], v[54:55]
	;; [unrolled: 1-line block ×3, first 2 shown]
	v_add_f64 v[38:39], v[38:39], v[144:145]
	v_fma_f64 v[144:145], v[150:151], s[4:5], v[146:147]
	v_fma_f64 v[142:143], v[150:151], s[8:9], v[142:143]
	;; [unrolled: 1-line block ×6, first 2 shown]
	v_add_f64 v[28:29], v[36:37], v[28:29]
	v_fma_f64 v[36:37], v[168:169], s[8:9], v[185:186]
	v_fma_f64 v[54:55], v[168:169], s[4:5], v[54:55]
	;; [unrolled: 1-line block ×7, first 2 shown]
	v_mul_f64 v[164:165], v[154:155], s[8:9]
	v_fma_f64 v[6:7], v[166:167], s[4:5], v[6:7]
	v_fma_f64 v[146:147], v[28:29], s[14:15], v[36:37]
	;; [unrolled: 1-line block ×3, first 2 shown]
	v_mul_f64 v[28:29], v[152:153], s[6:7]
	v_mul_f64 v[36:37], v[148:149], s[6:7]
	v_fma_f64 v[38:39], v[180:181], s[4:5], v[38:39]
	v_fma_f64 v[142:143], v[162:163], s[14:15], v[46:47]
	v_mul_f64 v[42:43], v[150:151], s[8:9]
	v_add_f64 v[22:23], v[191:192], v[22:23]
	v_fma_f64 v[46:47], v[197:198], s[16:17], v[164:165]
	v_fma_f64 v[54:55], v[170:171], s[14:15], v[189:190]
	v_fma_f64 v[6:7], v[170:171], s[14:15], v[6:7]
	v_fma_f64 v[28:29], v[146:147], s[14:15], v[28:29]
	v_fma_f64 v[36:37], v[144:145], s[18:19], v[36:37]
	v_fma_f64 v[38:39], v[62:63], s[14:15], v[38:39]
	v_fma_f64 v[42:43], v[142:143], s[20:21], v[42:43]
	ds_write2_b64 v175, v[30:31], v[14:15] offset0:60 offset1:70
	ds_write2_b64 v175, v[4:5], v[44:45] offset0:80 offset1:90
	v_add_f64 v[4:5], v[193:194], v[22:23]
	v_add_f64 v[14:15], v[195:196], v[46:47]
	v_add_f64 v[22:23], v[193:194], -v[22:23]
	v_add_f64 v[30:31], v[54:55], v[28:29]
	v_add_f64 v[44:45], v[6:7], v[36:37]
	v_add_f64 v[46:47], v[195:196], -v[46:47]
	v_add_f64 v[62:63], v[38:39], v[42:43]
	v_add_f64 v[28:29], v[54:55], -v[28:29]
	v_mul_u32_u24_e32 v54, 0x320, v124
	v_lshlrev_b32_sdwa v55, v174, v125 dst_sel:DWORD dst_unused:UNUSED_PAD src0_sel:DWORD src1_sel:BYTE_0
	v_add3_u32 v176, 0, v54, v55
	ds_write2_b64 v176, v[4:5], v[14:15] offset1:10
	ds_write2_b64 v176, v[30:31], v[44:45] offset0:20 offset1:30
	ds_write2_b64 v176, v[62:63], v[22:23] offset0:40 offset1:50
	;; [unrolled: 1-line block ×3, first 2 shown]
	v_add_f64 v[4:5], v[76:77], v[86:87]
	v_add_f64 v[54:55], v[84:85], v[94:95]
	v_add_f64 v[14:15], v[38:39], -v[42:43]
	v_add_f64 v[30:31], v[0:1], v[68:69]
	v_add_f64 v[42:43], v[32:33], -v[12:13]
	;; [unrolled: 2-line block ×3, first 2 shown]
	v_add_f64 v[38:39], v[68:69], -v[84:85]
	v_fma_f64 v[4:5], v[4:5], -0.5, v[64:65]
	v_fma_f64 v[22:23], v[54:55], -0.5, v[0:1]
	v_add_f64 v[44:45], v[96:97], -v[94:95]
	v_add_f64 v[46:47], v[32:33], -v[24:25]
	;; [unrolled: 1-line block ×6, first 2 shown]
	v_fma_f64 v[164:165], v[42:43], s[0:1], v[4:5]
	v_add_f64 v[170:171], v[66:67], -v[82:83]
	v_add_f64 v[30:31], v[30:31], v[84:85]
	v_add_f64 v[62:63], v[62:63], v[24:25]
	;; [unrolled: 1-line block ×6, first 2 shown]
	v_fma_f64 v[162:163], v[166:167], s[4:5], v[164:165]
	v_fma_f64 v[164:165], v[170:171], s[6:7], v[22:23]
	v_add_f64 v[168:169], v[74:75], -v[78:79]
	v_add_f64 v[30:31], v[30:31], v[94:95]
	v_add_f64 v[62:63], v[62:63], v[20:21]
	ds_write2_b64 v176, v[6:7], v[14:15] offset0:80 offset1:90
	v_add_f64 v[6:7], v[38:39], v[44:45]
	v_add_f64 v[38:39], v[72:73], v[92:93]
	v_fma_f64 v[36:37], v[36:37], -0.5, v[40:41]
	v_add_f64 v[124:125], v[72:73], -v[92:93]
	v_fma_f64 v[181:182], v[54:55], s[14:15], v[162:163]
	v_fma_f64 v[0:1], v[28:29], -0.5, v[0:1]
	v_fma_f64 v[14:15], v[168:169], s[8:9], v[164:165]
	v_add_f64 v[28:29], v[30:31], v[96:97]
	v_add_f64 v[30:31], v[62:63], v[12:13]
	v_add_f64 v[62:63], v[84:85], -v[68:69]
	v_add_f64 v[162:163], v[94:95], -v[96:97]
	v_add_f64 v[164:165], v[32:33], v[12:13]
	v_fma_f64 v[38:39], v[38:39], -0.5, v[64:65]
	v_fma_f64 v[177:178], v[124:125], s[6:7], v[36:37]
	v_add_f64 v[179:180], v[76:77], -v[86:87]
	v_add_f64 v[24:25], v[24:25], -v[32:33]
	v_add_f64 v[12:13], v[20:21], -v[12:13]
	v_fma_f64 v[4:5], v[42:43], s[6:7], v[4:5]
	v_add_f64 v[62:63], v[62:63], v[162:163]
	v_fma_f64 v[40:41], v[164:165], -0.5, v[40:41]
	v_add_f64 v[162:163], v[76:77], -v[72:73]
	v_add_f64 v[164:165], v[86:87], -v[92:93]
	v_fma_f64 v[32:33], v[166:167], s[6:7], v[38:39]
	v_fma_f64 v[20:21], v[166:167], s[0:1], v[38:39]
	;; [unrolled: 1-line block ×7, first 2 shown]
	v_add_f64 v[162:163], v[162:163], v[164:165]
	v_fma_f64 v[32:33], v[42:43], s[4:5], v[32:33]
	v_fma_f64 v[20:21], v[42:43], s[8:9], v[20:21]
	;; [unrolled: 1-line block ×3, first 2 shown]
	v_mul_f64 v[44:45], v[181:182], s[8:9]
	v_fma_f64 v[38:39], v[168:169], s[0:1], v[0:1]
	v_fma_f64 v[0:1], v[168:169], s[6:7], v[0:1]
	v_add_f64 v[12:13], v[24:25], v[12:13]
	v_fma_f64 v[24:25], v[124:125], s[8:9], v[185:186]
	v_fma_f64 v[185:186], v[162:163], s[14:15], v[32:33]
	;; [unrolled: 1-line block ×12, first 2 shown]
	v_mul_f64 v[4:5], v[185:186], s[6:7]
	v_fma_f64 v[191:192], v[12:13], s[14:15], v[32:33]
	v_mul_f64 v[12:13], v[187:188], s[6:7]
	v_fma_f64 v[20:21], v[168:169], s[4:5], v[20:21]
	v_fma_f64 v[193:194], v[46:47], s[14:15], v[22:23]
	v_mul_f64 v[22:23], v[179:180], s[8:9]
	v_mul_u32_u24_e32 v195, 0x320, v160
	v_lshlrev_b32_e32 v196, 3, v161
	v_add_f64 v[160:161], v[28:29], v[30:31]
	v_add_f64 v[24:25], v[14:15], v[44:45]
	v_fma_f64 v[32:33], v[62:63], s[14:15], v[38:39]
	v_fma_f64 v[4:5], v[189:190], s[14:15], v[4:5]
	;; [unrolled: 1-line block ×4, first 2 shown]
	v_add_f64 v[10:11], v[10:11], v[34:35]
	v_fma_f64 v[6:7], v[6:7], s[14:15], v[20:21]
	v_add_f64 v[20:21], v[116:117], v[126:127]
	v_fma_f64 v[22:23], v[193:194], s[20:21], v[22:23]
	v_add3_u32 v211, 0, v195, v196
	ds_write2_b64 v211, v[160:161], v[24:25] offset1:10
	v_add_f64 v[24:25], v[32:33], v[4:5]
	v_add_f64 v[34:35], v[0:1], v[12:13]
	;; [unrolled: 1-line block ×3, first 2 shown]
	v_add_f64 v[28:29], v[28:29], -v[30:31]
	v_fma_f64 v[199:200], v[20:21], -0.5, v[58:59]
	v_add_f64 v[20:21], v[6:7], v[22:23]
	v_add_f64 v[14:15], v[14:15], -v[44:45]
	v_add_f64 v[4:5], v[32:33], -v[4:5]
	;; [unrolled: 1-line block ×4, first 2 shown]
	v_add_f64 v[30:31], v[58:59], v[112:113]
	v_add_f64 v[10:11], v[10:11], v[18:19]
	ds_write2_b64 v211, v[24:25], v[34:35] offset0:20 offset1:30
	ds_write2_b64 v211, v[20:21], v[28:29] offset0:40 offset1:50
	;; [unrolled: 1-line block ×4, first 2 shown]
	v_add_f64 v[0:1], v[112:113], v[128:129]
	v_add_f64 v[201:202], v[50:51], -v[56:57]
	v_add_f64 v[195:196], v[48:49], -v[52:53]
	v_add_f64 v[30:31], v[30:31], v[116:117]
	v_add_f64 v[205:206], v[10:11], v[16:17]
	v_add_f64 v[26:27], v[112:113], -v[116:117]
	v_add_f64 v[36:37], v[128:129], -v[126:127]
	v_mul_f64 v[136:137], v[136:137], s[20:21]
	v_fma_f64 v[10:11], v[0:1], -0.5, v[58:59]
	v_add_f64 v[58:59], v[116:117], -v[112:113]
	v_add_f64 v[112:113], v[126:127], -v[128:129]
	v_add_f64 v[12:13], v[30:31], v[126:127]
	v_fma_f64 v[38:39], v[195:196], s[0:1], v[199:200]
	v_mul_f64 v[2:3], v[2:3], s[16:17]
	v_add_f64 v[203:204], v[26:27], v[36:37]
	v_fma_f64 v[130:131], v[130:131], s[4:5], v[136:137]
	v_fma_f64 v[116:117], v[201:202], s[6:7], v[10:11]
	;; [unrolled: 1-line block ×3, first 2 shown]
	v_add_f64 v[58:59], v[58:59], v[112:113]
	v_add_f64 v[207:208], v[12:13], v[128:129]
	v_mul_f64 v[128:129], v[138:139], s[14:15]
	v_fma_f64 v[18:19], v[201:202], s[4:5], v[38:39]
	v_add_f64 v[136:137], v[60:61], v[70:71]
	v_fma_f64 v[183:184], v[183:184], s[4:5], v[2:3]
	v_fma_f64 v[112:113], v[195:196], s[4:5], v[116:117]
	;; [unrolled: 1-line block ×3, first 2 shown]
	v_add_f64 v[106:107], v[106:107], v[110:111]
	v_add_f64 v[98:99], v[98:99], -v[102:103]
	v_fma_f64 v[116:117], v[195:196], s[6:7], v[199:200]
	v_fma_f64 v[209:210], v[203:204], s[14:15], v[18:19]
	v_add_f64 v[102:103], v[136:137], v[80:81]
	v_mul_f64 v[138:139], v[140:141], s[18:19]
	v_fma_f64 v[112:113], v[58:59], s[14:15], v[112:113]
	v_fma_f64 v[58:59], v[58:59], s[14:15], v[126:127]
	;; [unrolled: 1-line block ×3, first 2 shown]
	v_add_f64 v[132:133], v[80:81], v[88:89]
	v_add_f64 v[140:141], v[207:208], v[205:206]
	;; [unrolled: 1-line block ×3, first 2 shown]
	v_add_f64 v[100:101], v[100:101], -v[104:105]
	v_add_f64 v[102:103], v[102:103], v[88:89]
	v_fma_f64 v[116:117], v[201:202], s[8:9], v[116:117]
	v_add_u32_e32 v161, 0x5c00, v157
	v_add_f64 v[110:111], v[112:113], v[126:127]
	v_add_f64 v[112:113], v[112:113], -v[126:127]
	v_add_f64 v[126:127], v[70:71], v[90:91]
	v_fma_f64 v[132:133], v[132:133], -0.5, v[60:61]
	v_add_u32_e32 v168, 0x3c00, v157
	v_add_u32_e32 v169, 0x3000, v157
	v_lshl_add_u32 v170, v156, 3, 0
	s_waitcnt lgkmcnt(0)
	s_barrier
	v_fma_f64 v[60:61], v[126:127], -0.5, v[60:61]
	v_add_u32_e32 v160, 0x1000, v157
	v_add_u32_e32 v164, 0x2000, v157
	;; [unrolled: 1-line block ×8, first 2 shown]
	ds_read_b64 v[62:63], v170 offset:3840
	ds_read_b64 v[124:125], v157 offset:27840
	ds_read2_b64 v[4:7], v157 offset1:120
	ds_read2_b64 v[54:57], v160 offset0:88 offset1:208
	ds_read2_b64 v[18:21], v164 offset0:56 offset1:176
	;; [unrolled: 1-line block ×13, first 2 shown]
	s_waitcnt lgkmcnt(0)
	s_barrier
	v_fma_f64 v[128:129], v[134:135], s[0:1], v[138:139]
	ds_write2_b64 v175, v[140:141], v[195:196] offset1:10
	v_add_f64 v[106:107], v[106:107], v[114:115]
	v_add_f64 v[114:115], v[70:71], -v[80:81]
	v_add_f64 v[140:141], v[90:91], -v[88:89]
	v_fma_f64 v[136:137], v[100:101], s[0:1], v[132:133]
	v_add_f64 v[102:103], v[102:103], v[90:91]
	v_add_f64 v[70:71], v[80:81], -v[70:71]
	v_fma_f64 v[80:81], v[100:101], s[6:7], v[132:133]
	v_add_f64 v[88:89], v[88:89], -v[90:91]
	v_fma_f64 v[90:91], v[98:99], s[6:7], v[60:61]
	v_fma_f64 v[60:61], v[98:99], s[0:1], v[60:61]
	;; [unrolled: 1-line block ×3, first 2 shown]
	v_add_f64 v[134:135], v[58:59], v[128:129]
	v_add_f64 v[106:107], v[106:107], v[108:109]
	v_fma_f64 v[136:137], v[98:99], s[4:5], v[136:137]
	v_fma_f64 v[80:81], v[98:99], s[8:9], v[80:81]
	v_add_f64 v[70:71], v[70:71], v[88:89]
	v_fma_f64 v[88:89], v[100:101], s[4:5], v[90:91]
	v_fma_f64 v[60:61], v[100:101], s[8:9], v[60:61]
	v_mul_f64 v[98:99], v[148:149], s[18:19]
	v_add_f64 v[104:105], v[207:208], -v[205:206]
	v_add_f64 v[138:139], v[116:117], v[130:131]
	v_add_f64 v[183:184], v[209:210], -v[183:184]
	v_add_f64 v[108:109], v[114:115], v[140:141]
	v_mul_f64 v[114:115], v[154:155], s[16:17]
	ds_write2_b64 v175, v[110:111], v[134:135] offset0:20 offset1:30
	ds_write2_b64 v175, v[138:139], v[104:105] offset0:40 offset1:50
	ds_write2_b64 v175, v[183:184], v[112:113] offset0:60 offset1:70
	v_add_f64 v[104:105], v[106:107], v[118:119]
	v_mul_f64 v[90:91], v[152:153], s[14:15]
	v_fma_f64 v[88:89], v[70:71], s[14:15], v[88:89]
	v_fma_f64 v[60:61], v[70:71], s[14:15], v[60:61]
	v_fma_f64 v[70:71], v[144:145], s[0:1], v[98:99]
	v_add_f64 v[98:99], v[74:75], v[78:79]
	v_fma_f64 v[106:107], v[197:198], s[4:5], v[114:115]
	v_fma_f64 v[110:111], v[108:109], s[14:15], v[136:137]
	v_add_f64 v[58:59], v[58:59], -v[128:129]
	v_add_f64 v[112:113], v[116:117], -v[130:131]
	v_add_f64 v[114:115], v[102:103], v[104:105]
	v_fma_f64 v[80:81], v[108:109], s[14:15], v[80:81]
	v_fma_f64 v[90:91], v[146:147], s[0:1], v[90:91]
	v_add_f64 v[100:101], v[102:103], -v[104:105]
	v_add_f64 v[104:105], v[66:67], v[82:83]
	v_fma_f64 v[98:99], v[98:99], -0.5, v[8:9]
	v_add_f64 v[108:109], v[8:9], v[66:67]
	v_add_f64 v[68:69], v[68:69], -v[96:97]
	v_add_f64 v[64:65], v[64:65], v[72:73]
	v_add_f64 v[116:117], v[110:111], v[106:107]
	ds_write2_b64 v175, v[58:59], v[112:113] offset0:80 offset1:90
	v_mul_f64 v[58:59], v[150:151], s[20:21]
	v_add_f64 v[102:103], v[110:111], -v[106:107]
	v_add_f64 v[106:107], v[88:89], v[90:91]
	v_add_f64 v[88:89], v[88:89], -v[90:91]
	v_add_f64 v[90:91], v[60:61], v[70:71]
	v_add_f64 v[60:61], v[60:61], -v[70:71]
	v_fma_f64 v[8:9], v[104:105], -0.5, v[8:9]
	v_add_f64 v[70:71], v[84:85], -v[94:95]
	v_add_f64 v[84:85], v[66:67], -v[74:75]
	v_add_f64 v[94:95], v[82:83], -v[78:79]
	v_add_f64 v[72:73], v[108:109], v[74:75]
	v_fma_f64 v[96:97], v[68:69], s[0:1], v[98:99]
	v_fma_f64 v[98:99], v[68:69], s[6:7], v[98:99]
	v_add_f64 v[64:65], v[64:65], v[76:77]
	v_fma_f64 v[58:59], v[142:143], s[4:5], v[58:59]
	v_add_f64 v[66:67], v[74:75], -v[66:67]
	v_add_f64 v[74:75], v[78:79], -v[82:83]
	v_fma_f64 v[104:105], v[70:71], s[6:7], v[8:9]
	v_fma_f64 v[8:9], v[70:71], s[0:1], v[8:9]
	v_add_f64 v[76:77], v[84:85], v[94:95]
	v_fma_f64 v[84:85], v[70:71], s[4:5], v[96:97]
	v_add_f64 v[72:73], v[72:73], v[78:79]
	;; [unrolled: 2-line block ×3, first 2 shown]
	v_mul_f64 v[78:79], v[181:182], s[16:17]
	v_add_f64 v[66:67], v[66:67], v[74:75]
	v_fma_f64 v[74:75], v[68:69], s[4:5], v[104:105]
	v_fma_f64 v[8:9], v[68:69], s[8:9], v[8:9]
	v_add_f64 v[68:69], v[80:81], v[58:59]
	v_add_f64 v[58:59], v[80:81], -v[58:59]
	v_add_f64 v[72:73], v[72:73], v[82:83]
	v_mul_f64 v[80:81], v[185:186], s[14:15]
	v_fma_f64 v[82:83], v[76:77], s[14:15], v[84:85]
	v_mul_f64 v[84:85], v[187:188], s[18:19]
	v_mul_f64 v[86:87], v[179:180], s[20:21]
	v_add_f64 v[64:65], v[64:65], v[92:93]
	v_fma_f64 v[70:71], v[76:77], s[14:15], v[70:71]
	v_fma_f64 v[76:77], v[177:178], s[4:5], v[78:79]
	;; [unrolled: 1-line block ×7, first 2 shown]
	v_add_f64 v[84:85], v[72:73], v[64:65]
	v_add_f64 v[64:65], v[72:73], -v[64:65]
	v_add_f64 v[72:73], v[82:83], v[76:77]
	v_add_f64 v[76:77], v[82:83], -v[76:77]
	;; [unrolled: 2-line block ×4, first 2 shown]
	v_add_f64 v[66:67], v[70:71], v[80:81]
	s_movk_i32 s0, 0x64
	ds_write2_b64 v176, v[114:115], v[116:117] offset1:10
	v_add_f64 v[70:71], v[70:71], -v[80:81]
	ds_write2_b64 v176, v[106:107], v[90:91] offset0:20 offset1:30
	ds_write2_b64 v176, v[68:69], v[100:101] offset0:40 offset1:50
	;; [unrolled: 1-line block ×4, first 2 shown]
	ds_write2_b64 v211, v[84:85], v[72:73] offset1:10
	ds_write2_b64 v211, v[82:83], v[78:79] offset0:20 offset1:30
	ds_write2_b64 v211, v[66:67], v[64:65] offset0:40 offset1:50
	;; [unrolled: 1-line block ×4, first 2 shown]
	v_add_u32_e32 v8, 0xffffff9c, v156
	v_cmp_gt_u32_e64 s[0:1], s0, v156
	v_cndmask_b32_e64 v66, v8, v156, s[0:1]
	v_mul_i32_i24_e32 v92, 5, v66
	v_mov_b32_e32 v93, 0
	v_lshlrev_b64 v[8:9], 4, v[92:93]
	v_mov_b32_e32 v58, s13
	v_add_co_u32_e64 v118, s[0:1], s12, v8
	v_addc_co_u32_e64 v119, s[0:1], v58, v9, s[0:1]
	s_waitcnt lgkmcnt(0)
	s_barrier
	global_load_dwordx4 v[58:61], v[118:119], off offset:1440
	v_mov_b32_e32 v8, 41
	v_mul_lo_u16_sdwa v8, v172, v8 dst_sel:DWORD dst_unused:UNUSED_PAD src0_sel:BYTE_0 src1_sel:DWORD
	v_lshrrev_b16_e32 v64, 12, v8
	v_mul_lo_u16_e32 v8, 0x64, v64
	v_sub_u16_e32 v65, v172, v8
	v_mov_b32_e32 v8, 5
	v_mul_u32_u24_sdwa v8, v65, v8 dst_sel:DWORD dst_unused:UNUSED_PAD src0_sel:BYTE_0 src1_sel:DWORD
	v_lshlrev_b32_e32 v8, 4, v8
	global_load_dwordx4 v[72:75], v8, s[12:13] offset:1440
	global_load_dwordx4 v[76:79], v[118:119], off offset:1472
	global_load_dwordx4 v[80:83], v8, s[12:13] offset:1472
	global_load_dwordx4 v[84:87], v[118:119], off offset:1504
	global_load_dwordx4 v[88:91], v8, s[12:13] offset:1456
	global_load_dwordx4 v[94:97], v8, s[12:13] offset:1504
	v_lshrrev_b16_e32 v9, 2, v173
	v_mul_u32_u24_e32 v9, 0x147b, v9
	v_lshrrev_b32_e32 v67, 17, v9
	v_mul_lo_u16_e32 v9, 0x64, v67
	v_sub_u16_e32 v68, v173, v9
	v_mul_u32_u24_e32 v9, 5, v68
	v_lshlrev_b32_e32 v71, 4, v9
	global_load_dwordx4 v[98:101], v71, s[12:13] offset:1456
	global_load_dwordx4 v[102:105], v8, s[12:13] offset:1488
                                        ; kill: killed $vgpr8
	global_load_dwordx4 v[106:109], v71, s[12:13] offset:1488
	global_load_dwordx4 v[110:113], v71, s[12:13] offset:1440
	v_add_u16_e32 v8, 0x168, v156
	v_lshrrev_b16_e32 v9, 2, v8
	v_mul_u32_u24_e32 v9, 0x147b, v9
	v_lshrrev_b32_e32 v69, 17, v9
	v_mul_lo_u16_e32 v9, 0x64, v69
	v_sub_u16_e32 v70, v8, v9
	v_mul_u32_u24_e32 v8, 5, v70
	v_lshlrev_b32_e32 v155, 4, v8
	global_load_dwordx4 v[114:117], v155, s[12:13] offset:1440
	global_load_dwordx4 v[127:130], v71, s[12:13] offset:1472
	ds_read2_b64 v[131:134], v160 offset0:88 offset1:208
	global_load_dwordx4 v[135:138], v155, s[12:13] offset:1472
	global_load_dwordx4 v[139:142], v[118:119], off offset:1456
	global_load_dwordx4 v[143:146], v71, s[12:13] offset:1504
	global_load_dwordx4 v[147:150], v155, s[12:13] offset:1504
	v_add_u32_e32 v126, 0x1e0, v156
	v_lshrrev_b16_e32 v71, 2, v126
	v_mul_u32_u24_e32 v71, 0x147b, v71
	v_lshrrev_b32_e32 v71, 17, v71
	v_mul_lo_u16_e32 v92, 0x64, v71
	v_sub_u16_e32 v92, v126, v92
	v_mul_u32_u24_e32 v151, 5, v92
	v_lshlrev_b32_e32 v199, 4, v151
	global_load_dwordx4 v[151:154], v199, s[12:13] offset:1440
	ds_read2_b64 v[175:178], v158 offset0:8 offset1:128
	global_load_dwordx4 v[179:182], v155, s[12:13] offset:1456
	global_load_dwordx4 v[183:186], v[118:119], off offset:1488
	global_load_dwordx4 v[187:190], v199, s[12:13] offset:1456
	global_load_dwordx4 v[195:198], v199, s[12:13] offset:1472
	ds_read2_b64 v[191:194], v161 offset0:56 offset1:176
	s_mov_b32 s4, 0xe8584caa
	s_mov_b32 s5, 0xbfebb67a
	;; [unrolled: 1-line block ×4, first 2 shown]
	s_movk_i32 s0, 0x63
	v_cmp_lt_u32_e64 s[0:1], s0, v156
	v_lshlrev_b32_e32 v66, 3, v66
	s_waitcnt vmcnt(21) lgkmcnt(2)
	v_mul_f64 v[8:9], v[131:132], v[60:61]
	v_mul_f64 v[60:61], v[54:55], v[60:61]
	s_waitcnt vmcnt(20)
	v_mul_f64 v[172:173], v[133:134], v[74:75]
	v_fma_f64 v[203:204], v[54:55], v[58:59], v[8:9]
	v_mul_f64 v[54:55], v[56:57], v[74:75]
	v_fma_f64 v[8:9], v[131:132], v[58:59], -v[60:61]
	s_waitcnt vmcnt(19) lgkmcnt(1)
	v_mul_f64 v[58:59], v[175:176], v[78:79]
	v_mul_f64 v[60:61], v[50:51], v[78:79]
	s_waitcnt vmcnt(18)
	v_mul_f64 v[74:75], v[177:178], v[82:83]
	v_mul_f64 v[82:83], v[52:53], v[82:83]
	v_fma_f64 v[172:173], v[56:57], v[72:73], v[172:173]
	s_waitcnt vmcnt(17)
	v_mul_f64 v[56:57], v[46:47], v[86:87]
	v_fma_f64 v[78:79], v[133:134], v[72:73], -v[54:55]
	global_load_dwordx4 v[131:134], v155, s[12:13] offset:1488
	v_fma_f64 v[205:206], v[50:51], v[76:77], v[58:59]
	v_fma_f64 v[60:61], v[175:176], v[76:77], -v[60:61]
	s_waitcnt lgkmcnt(0)
	v_mul_f64 v[54:55], v[191:192], v[86:87]
	v_fma_f64 v[82:83], v[177:178], v[80:81], -v[82:83]
	global_load_dwordx4 v[175:178], v199, s[12:13] offset:1488
	v_fma_f64 v[207:208], v[52:53], v[80:81], v[74:75]
	global_load_dwordx4 v[199:202], v199, s[12:13] offset:1504
	ds_read2_b64 v[50:53], v163 offset0:40 offset1:160
	s_waitcnt vmcnt(18)
	v_mul_f64 v[58:59], v[193:194], v[96:97]
	v_mul_f64 v[72:73], v[48:49], v[96:97]
	v_fma_f64 v[209:210], v[46:47], v[84:85], v[54:55]
	v_fma_f64 v[46:47], v[191:192], v[84:85], -v[56:57]
	s_waitcnt lgkmcnt(0)
	v_mul_f64 v[74:75], v[50:51], v[90:91]
	v_mul_f64 v[76:77], v[42:43], v[90:91]
	s_waitcnt vmcnt(17)
	v_mul_f64 v[80:81], v[52:53], v[100:101]
	ds_read2_b64 v[54:57], v162 offset0:88 offset1:208
	v_fma_f64 v[191:192], v[48:49], v[94:95], v[58:59]
	v_fma_f64 v[90:91], v[193:194], v[94:95], -v[72:73]
	v_mul_f64 v[48:49], v[44:45], v[100:101]
	s_waitcnt vmcnt(16)
	v_mul_f64 v[72:73], v[38:39], v[104:105]
	v_fma_f64 v[94:95], v[42:43], v[88:89], v[74:75]
	s_waitcnt lgkmcnt(0)
	v_mul_f64 v[58:59], v[54:55], v[104:105]
	s_waitcnt vmcnt(15)
	v_mul_f64 v[74:75], v[56:57], v[108:109]
	v_fma_f64 v[100:101], v[50:51], v[88:89], -v[76:77]
	v_fma_f64 v[76:77], v[44:45], v[98:99], v[80:81]
	ds_read2_b64 v[42:45], v167 offset0:72 offset1:192
	v_fma_f64 v[80:81], v[52:53], v[98:99], -v[48:49]
	v_mul_f64 v[52:53], v[40:41], v[108:109]
	v_fma_f64 v[98:99], v[54:55], v[102:103], -v[72:73]
	v_fma_f64 v[96:97], v[38:39], v[102:103], v[58:59]
	s_waitcnt vmcnt(14) lgkmcnt(0)
	v_mul_f64 v[38:39], v[42:43], v[112:113]
	v_mul_f64 v[54:55], v[34:35], v[112:113]
	v_fma_f64 v[84:85], v[40:41], v[106:107], v[74:75]
	s_waitcnt vmcnt(13)
	v_mul_f64 v[40:41], v[44:45], v[116:117]
	s_waitcnt vmcnt(12)
	v_mul_f64 v[72:73], v[30:31], v[129:130]
	ds_read2_b64 v[48:51], v168 offset0:120 offset1:240
	v_fma_f64 v[56:57], v[56:57], v[106:107], -v[52:53]
	v_mul_f64 v[52:53], v[36:37], v[116:117]
	v_fma_f64 v[193:194], v[34:35], v[110:111], v[38:39]
	v_fma_f64 v[86:87], v[42:43], v[110:111], -v[54:55]
	s_waitcnt lgkmcnt(0)
	v_mul_f64 v[58:59], v[48:49], v[129:130]
	v_fma_f64 v[34:35], v[36:37], v[114:115], v[40:41]
	ds_read2_b64 v[40:43], v166 offset0:40 offset1:160
	s_waitcnt vmcnt(11)
	v_mul_f64 v[54:55], v[50:51], v[137:138]
	v_mul_f64 v[36:37], v[32:33], v[137:138]
	v_fma_f64 v[88:89], v[48:49], v[127:128], -v[72:73]
	v_fma_f64 v[38:39], v[44:45], v[114:115], -v[52:53]
	s_waitcnt vmcnt(9) lgkmcnt(0)
	v_mul_f64 v[48:49], v[40:41], v[145:146]
	v_fma_f64 v[44:45], v[30:31], v[127:128], v[58:59]
	s_waitcnt vmcnt(8)
	v_mul_f64 v[72:73], v[28:29], v[149:150]
	v_mul_f64 v[58:59], v[42:43], v[149:150]
	v_fma_f64 v[30:31], v[32:33], v[135:136], v[54:55]
	v_mul_f64 v[32:33], v[26:27], v[145:146]
	v_fma_f64 v[50:51], v[50:51], v[135:136], -v[36:37]
	ds_read2_b64 v[52:55], v164 offset0:56 offset1:176
	v_fma_f64 v[135:136], v[26:27], v[143:144], v[48:49]
	v_mul_f64 v[26:27], v[20:21], v[141:142]
	v_fma_f64 v[36:37], v[42:43], v[147:148], -v[72:73]
	s_waitcnt vmcnt(4)
	v_mul_f64 v[108:109], v[24:25], v[189:190]
	s_waitcnt lgkmcnt(0)
	v_mul_f64 v[102:103], v[54:55], v[141:142]
	v_mul_f64 v[48:49], v[52:53], v[153:154]
	v_fma_f64 v[74:75], v[40:41], v[143:144], -v[32:33]
	ds_read2_b64 v[40:43], v169 offset0:24 offset1:144
	v_fma_f64 v[32:33], v[28:29], v[147:148], v[58:59]
	v_fma_f64 v[26:27], v[54:55], v[139:140], -v[26:27]
	v_mul_f64 v[54:55], v[22:23], v[181:182]
	v_mul_f64 v[58:59], v[18:19], v[153:154]
	s_waitcnt lgkmcnt(0)
	v_mul_f64 v[106:107], v[42:43], v[189:190]
	v_fma_f64 v[20:21], v[20:21], v[139:140], v[102:103]
	v_fma_f64 v[28:29], v[18:19], v[151:152], v[48:49]
	v_mul_f64 v[18:19], v[40:41], v[181:182]
	ds_read2_b64 v[102:105], v165 offset0:104 offset1:224
	v_mul_f64 v[112:113], v[16:17], v[185:186]
	v_fma_f64 v[72:73], v[40:41], v[179:180], -v[54:55]
	v_fma_f64 v[54:55], v[42:43], v[187:188], -v[108:109]
	ds_read2_b64 v[40:43], v171 offset0:72 offset1:192
	v_fma_f64 v[48:49], v[52:53], v[151:152], -v[58:59]
	s_waitcnt vmcnt(3) lgkmcnt(1)
	v_mul_f64 v[114:115], v[102:103], v[197:198]
	v_fma_f64 v[52:53], v[24:25], v[187:188], v[106:107]
	v_mul_f64 v[110:111], v[104:105], v[185:186]
	s_waitcnt vmcnt(2) lgkmcnt(0)
	v_mul_f64 v[24:25], v[40:41], v[133:134]
	v_fma_f64 v[58:59], v[22:23], v[179:180], v[18:19]
	v_mul_f64 v[106:107], v[10:11], v[133:134]
	v_fma_f64 v[18:19], v[104:105], v[183:184], -v[112:113]
	ds_read_b64 v[104:105], v157 offset:27840
	ds_read_b64 v[108:109], v170 offset:3840
	v_fma_f64 v[22:23], v[14:15], v[195:196], v[114:115]
	v_mul_f64 v[14:15], v[14:15], v[197:198]
	v_fma_f64 v[118:119], v[10:11], v[131:132], v[24:25]
	v_add_f64 v[10:11], v[60:61], v[46:47]
	v_fma_f64 v[16:17], v[16:17], v[183:184], v[110:111]
	s_waitcnt vmcnt(1)
	v_mul_f64 v[112:113], v[42:43], v[177:178]
	v_mul_f64 v[127:128], v[12:13], v[177:178]
	s_waitcnt vmcnt(0) lgkmcnt(1)
	v_mul_f64 v[129:130], v[104:105], v[201:202]
	v_fma_f64 v[116:117], v[40:41], v[131:132], -v[106:107]
	v_fma_f64 v[110:111], v[102:103], v[195:196], -v[14:15]
	v_add_f64 v[14:15], v[205:206], v[209:210]
	v_add_f64 v[40:41], v[205:206], -v[209:210]
	v_fma_f64 v[10:11], v[10:11], -0.5, v[8:9]
	v_fma_f64 v[114:115], v[12:13], v[175:176], v[112:113]
	v_fma_f64 v[106:107], v[42:43], v[175:176], -v[127:128]
	v_fma_f64 v[12:13], v[124:125], v[199:200], v[129:130]
	v_mul_f64 v[24:25], v[124:125], v[201:202]
	v_add_f64 v[42:43], v[203:204], v[205:206]
	v_fma_f64 v[14:15], v[14:15], -0.5, v[203:204]
	v_add_f64 v[102:103], v[60:61], -v[46:47]
	v_fma_f64 v[124:125], v[40:41], s[6:7], v[10:11]
	v_add_f64 v[127:128], v[20:21], v[16:17]
	v_add_f64 v[137:138], v[26:27], -v[18:19]
	v_fma_f64 v[40:41], v[40:41], s[4:5], v[10:11]
	v_fma_f64 v[112:113], v[104:105], v[199:200], -v[24:25]
	v_add_f64 v[24:25], v[42:43], v[209:210]
	v_add_f64 v[42:43], v[4:5], v[20:21]
	v_fma_f64 v[104:105], v[102:103], s[4:5], v[14:15]
	v_mul_f64 v[129:130], v[124:125], s[4:5]
	v_fma_f64 v[4:5], v[127:128], -0.5, v[4:5]
	v_add_f64 v[143:144], v[82:83], v[90:91]
	v_fma_f64 v[145:146], v[102:103], s[6:7], v[14:15]
	v_mul_f64 v[14:15], v[40:41], s[4:5]
	v_add_f64 v[147:148], v[207:208], v[191:192]
	v_add_f64 v[42:43], v[42:43], v[16:17]
	v_add_f64 v[149:150], v[207:208], -v[191:192]
	v_fma_f64 v[139:140], v[104:105], 0.5, v[129:130]
	v_fma_f64 v[10:11], v[137:138], s[4:5], v[4:5]
	v_fma_f64 v[143:144], v[143:144], -0.5, v[78:79]
	v_fma_f64 v[4:5], v[137:138], s[6:7], v[4:5]
	v_fma_f64 v[14:15], v[145:146], -0.5, v[14:15]
	v_mov_b32_e32 v131, 0x12c0
	v_add_f64 v[141:142], v[42:43], v[24:25]
	v_cndmask_b32_e64 v127, 0, v131, s[0:1]
	v_add3_u32 v155, 0, v127, v66
	v_add_f64 v[102:103], v[10:11], v[139:140]
	ds_read2_b64 v[127:130], v157 offset1:120
	ds_read2_b64 v[131:134], v159 offset0:112 offset1:232
	s_waitcnt lgkmcnt(0)
	s_barrier
	v_add_f64 v[24:25], v[42:43], -v[24:25]
	v_fma_f64 v[42:43], v[147:148], -0.5, v[172:173]
	v_fma_f64 v[137:138], v[149:150], s[6:7], v[143:144]
	ds_write2_b64 v155, v[141:142], v[102:103] offset1:100
	v_add_f64 v[102:103], v[82:83], -v[90:91]
	v_add_f64 v[141:142], v[94:95], v[96:97]
	v_add_f64 v[147:148], v[4:5], v[14:15]
	v_add_u32_e32 v198, 0x400, v155
	v_add_f64 v[10:11], v[10:11], -v[139:140]
	v_add_f64 v[4:5], v[4:5], -v[14:15]
	v_add_f64 v[14:15], v[6:7], v[94:95]
	v_add_f64 v[139:140], v[172:173], v[207:208]
	v_fma_f64 v[151:152], v[102:103], s[4:5], v[42:43]
	v_mul_f64 v[153:154], v[137:138], s[4:5]
	v_fma_f64 v[6:7], v[141:142], -0.5, v[6:7]
	v_add_f64 v[141:142], v[100:101], -v[98:99]
	ds_write2_b64 v198, v[147:148], v[24:25] offset0:72 offset1:172
	v_add_f64 v[24:25], v[88:89], v[74:75]
	v_add_u32_e32 v199, 0x800, v155
	ds_write2_b64 v199, v[10:11], v[4:5] offset0:144 offset1:244
	v_add_f64 v[4:5], v[139:140], v[191:192]
	v_add_f64 v[10:11], v[14:15], v[96:97]
	v_fma_f64 v[14:15], v[151:152], 0.5, v[153:154]
	v_fma_f64 v[139:140], v[141:142], s[4:5], v[6:7]
	v_lshlrev_b32_sdwa v66, v174, v65 dst_sel:DWORD dst_unused:UNUSED_PAD src0_sel:DWORD src1_sel:BYTE_0
	v_fma_f64 v[143:144], v[149:150], s[4:5], v[143:144]
	v_mul_u32_u24_e32 v174, 0x12c0, v64
	v_add_f64 v[64:65], v[44:45], v[135:136]
	v_add_f64 v[149:150], v[44:45], -v[135:136]
	v_fma_f64 v[24:25], v[24:25], -0.5, v[86:87]
	v_add_f64 v[147:148], v[10:11], v[4:5]
	v_add_f64 v[153:154], v[139:140], v[14:15]
	v_fma_f64 v[172:173], v[102:103], s[6:7], v[42:43]
	v_mul_f64 v[42:43], v[143:144], s[4:5]
	v_add3_u32 v200, 0, v174, v66
	v_fma_f64 v[64:65], v[64:65], -0.5, v[193:194]
	v_add_f64 v[102:103], v[76:77], v[84:85]
	v_add_f64 v[174:175], v[88:89], -v[74:75]
	v_fma_f64 v[176:177], v[149:150], s[6:7], v[24:25]
	ds_write2_b64 v200, v[147:148], v[153:154] offset1:100
	v_fma_f64 v[6:7], v[141:142], s[6:7], v[6:7]
	v_fma_f64 v[42:43], v[172:173], -0.5, v[42:43]
	v_add_f64 v[44:45], v[193:194], v[44:45]
	v_add_f64 v[141:142], v[0:1], v[76:77]
	v_fma_f64 v[0:1], v[102:103], -0.5, v[0:1]
	v_fma_f64 v[147:148], v[174:175], s[4:5], v[64:65]
	v_mul_f64 v[102:103], v[176:177], s[4:5]
	v_add_f64 v[153:154], v[80:81], -v[56:57]
	v_add_f64 v[4:5], v[10:11], -v[4:5]
	v_add_f64 v[10:11], v[6:7], v[42:43]
	v_add_f64 v[14:15], v[139:140], -v[14:15]
	v_add_f64 v[44:45], v[44:45], v[135:136]
	v_add_f64 v[135:136], v[141:142], v[84:85]
	v_fma_f64 v[139:140], v[149:150], s[4:5], v[24:25]
	v_fma_f64 v[24:25], v[147:148], 0.5, v[102:103]
	v_fma_f64 v[102:103], v[153:154], s[4:5], v[0:1]
	v_add_f64 v[6:7], v[6:7], -v[42:43]
	v_add_u32_e32 v201, 0x400, v200
	v_add_u32_e32 v202, 0x800, v200
	ds_write2_b64 v201, v[10:11], v[4:5] offset0:72 offset1:172
	v_fma_f64 v[141:142], v[174:175], s[6:7], v[64:65]
	v_mul_f64 v[4:5], v[139:140], s[4:5]
	v_add_f64 v[10:11], v[135:136], v[44:45]
	v_add_f64 v[42:43], v[102:103], v[24:25]
	ds_write2_b64 v202, v[14:15], v[6:7] offset0:144 offset1:244
	v_add_f64 v[6:7], v[50:51], v[36:37]
	v_mul_u32_u24_e32 v14, 0x12c0, v67
	v_lshlrev_b32_e32 v15, 3, v68
	v_add3_u32 v203, 0, v14, v15
	v_fma_f64 v[0:1], v[153:154], s[6:7], v[0:1]
	v_fma_f64 v[4:5], v[141:142], -0.5, v[4:5]
	ds_write2_b64 v203, v[10:11], v[42:43] offset1:100
	v_add_f64 v[14:15], v[30:31], v[32:33]
	v_add_f64 v[42:43], v[30:31], -v[32:33]
	v_fma_f64 v[6:7], v[6:7], -0.5, v[38:39]
	v_add_f64 v[10:11], v[135:136], -v[44:45]
	v_add_f64 v[24:25], v[102:103], -v[24:25]
	v_add_f64 v[30:31], v[34:35], v[30:31]
	v_add_f64 v[44:45], v[0:1], v[4:5]
	v_add_f64 v[0:1], v[0:1], -v[4:5]
	v_fma_f64 v[14:15], v[14:15], -0.5, v[34:35]
	v_add_f64 v[34:35], v[50:51], -v[36:37]
	v_fma_f64 v[135:136], v[42:43], s[6:7], v[6:7]
	v_add_u32_e32 v204, 0x400, v203
	v_add_f64 v[4:5], v[58:59], v[118:119]
	v_add_u32_e32 v205, 0x800, v203
	ds_write2_b64 v204, v[44:45], v[10:11] offset0:72 offset1:172
	ds_write2_b64 v205, v[24:25], v[0:1] offset0:144 offset1:244
	v_add_f64 v[24:25], v[110:111], v[112:113]
	v_fma_f64 v[149:150], v[34:35], s[4:5], v[14:15]
	v_mul_f64 v[10:11], v[135:136], s[4:5]
	v_fma_f64 v[153:154], v[42:43], s[4:5], v[6:7]
	v_fma_f64 v[0:1], v[4:5], -0.5, v[2:3]
	v_add_f64 v[4:5], v[30:31], v[32:33]
	v_mul_u32_u24_e32 v32, 0x12c0, v69
	v_lshlrev_b32_e32 v33, 3, v70
	v_add3_u32 v206, 0, v32, v33
	v_add_f64 v[32:33], v[22:23], -v[12:13]
	v_fma_f64 v[6:7], v[149:150], 0.5, v[10:11]
	v_add_f64 v[10:11], v[22:23], v[12:13]
	v_fma_f64 v[24:25], v[24:25], -0.5, v[48:49]
	v_add_f64 v[2:3], v[2:3], v[58:59]
	v_add_f64 v[30:31], v[72:73], -v[116:117]
	v_fma_f64 v[174:175], v[34:35], s[6:7], v[14:15]
	v_mul_f64 v[14:15], v[153:154], s[4:5]
	v_add_f64 v[44:45], v[52:53], v[114:115]
	v_add_f64 v[64:65], v[110:111], -v[112:113]
	v_fma_f64 v[10:11], v[10:11], -0.5, v[28:29]
	v_fma_f64 v[178:179], v[32:33], s[6:7], v[24:25]
	v_add_f64 v[2:3], v[2:3], v[118:119]
	v_fma_f64 v[42:43], v[30:31], s[4:5], v[0:1]
	v_fma_f64 v[0:1], v[30:31], s[6:7], v[0:1]
	v_fma_f64 v[14:15], v[174:175], -0.5, v[14:15]
	v_add_f64 v[22:23], v[28:29], v[22:23]
	v_fma_f64 v[28:29], v[44:45], -0.5, v[62:63]
	v_add_f64 v[30:31], v[62:63], v[52:53]
	v_fma_f64 v[180:181], v[64:65], s[4:5], v[10:11]
	v_mul_f64 v[44:45], v[178:179], s[4:5]
	v_add_f64 v[62:63], v[54:55], -v[106:107]
	v_fma_f64 v[182:183], v[32:33], s[4:5], v[24:25]
	v_add_f64 v[34:35], v[2:3], v[4:5]
	v_add_f64 v[2:3], v[2:3], -v[4:5]
	v_add_f64 v[4:5], v[0:1], v[14:15]
	v_add_f64 v[12:13], v[22:23], v[12:13]
	;; [unrolled: 1-line block ×3, first 2 shown]
	v_fma_f64 v[24:25], v[180:181], 0.5, v[44:45]
	v_fma_f64 v[30:31], v[62:63], s[4:5], v[28:29]
	v_fma_f64 v[184:185], v[64:65], s[6:7], v[10:11]
	v_mul_f64 v[10:11], v[182:183], s[4:5]
	v_add_f64 v[66:67], v[42:43], v[6:7]
	v_add_f64 v[6:7], v[42:43], -v[6:7]
	v_add_f64 v[0:1], v[0:1], -v[14:15]
	v_add_u32_e32 v207, 0x400, v206
	ds_write2_b64 v207, v[4:5], v[2:3] offset0:72 offset1:172
	v_add_f64 v[2:3], v[22:23], v[12:13]
	v_add_f64 v[4:5], v[30:31], v[24:25]
	v_fma_f64 v[14:15], v[62:63], s[6:7], v[28:29]
	v_fma_f64 v[10:11], v[184:185], -0.5, v[10:11]
	v_add_u32_e32 v208, 0x800, v206
	ds_write2_b64 v208, v[6:7], v[0:1] offset0:144 offset1:244
	v_mul_u32_u24_e32 v0, 0x12c0, v71
	v_lshlrev_b32_e32 v1, 3, v92
	v_add3_u32 v92, 0, v0, v1
	ds_write2_b64 v206, v[34:35], v[66:67] offset1:100
	ds_write2_b64 v92, v[2:3], v[4:5] offset1:100
	v_add_f64 v[2:3], v[14:15], v[10:11]
	v_add_f64 v[6:7], v[14:15], -v[10:11]
	v_add_f64 v[14:15], v[26:27], v[18:19]
	v_add_f64 v[10:11], v[127:128], v[26:27]
	;; [unrolled: 1-line block ×3, first 2 shown]
	v_add_f64 v[186:187], v[20:21], -v[16:17]
	v_mul_f64 v[192:193], v[40:41], -0.5
	v_add_f64 v[0:1], v[22:23], -v[12:13]
	v_mul_f64 v[12:13], v[124:125], 0.5
	v_add_f64 v[196:197], v[100:101], v[98:99]
	v_fma_f64 v[127:128], v[14:15], -0.5, v[127:128]
	v_add_f64 v[124:125], v[10:11], v[18:19]
	v_add_f64 v[188:189], v[8:9], v[46:47]
	;; [unrolled: 1-line block ×3, first 2 shown]
	v_fma_f64 v[145:146], v[145:146], s[6:7], v[192:193]
	v_add_f64 v[4:5], v[30:31], -v[24:25]
	v_add_f64 v[78:79], v[78:79], v[82:83]
	v_fma_f64 v[129:130], v[196:197], -0.5, v[129:130]
	v_fma_f64 v[194:195], v[186:187], s[6:7], v[127:128]
	v_fma_f64 v[127:128], v[186:187], s[4:5], v[127:128]
	v_add_f64 v[186:187], v[124:125], v[188:189]
	v_add_f64 v[124:125], v[124:125], -v[188:189]
	v_add_f64 v[94:95], v[94:95], -v[96:97]
	v_add_f64 v[96:97], v[100:101], v[98:99]
	v_add_f64 v[100:101], v[80:81], v[56:57]
	v_add_u32_e32 v209, 0x400, v92
	v_add_u32_e32 v210, 0x800, v92
	v_add_f64 v[82:83], v[127:128], v[145:146]
	ds_write2_b64 v209, v[2:3], v[0:1] offset0:72 offset1:172
	ds_write2_b64 v210, v[4:5], v[6:7] offset0:144 offset1:244
	v_fma_f64 v[190:191], v[104:105], s[6:7], v[12:13]
	s_waitcnt lgkmcnt(0)
	s_barrier
	ds_read_b64 v[102:103], v170 offset:3840
	ds_read_b64 v[104:105], v157 offset:27840
	ds_read2_b64 v[0:3], v157 offset1:120
	ds_read2_b64 v[12:15], v160 offset0:88 offset1:208
	ds_read2_b64 v[4:7], v164 offset0:56 offset1:176
	;; [unrolled: 1-line block ×13, first 2 shown]
	s_waitcnt lgkmcnt(0)
	s_barrier
	v_mul_f64 v[137:138], v[137:138], 0.5
	ds_write2_b64 v198, v[82:83], v[124:125] offset0:72 offset1:172
	v_fma_f64 v[124:125], v[94:95], s[6:7], v[129:130]
	v_add_f64 v[76:77], v[76:77], -v[84:85]
	v_add_f64 v[80:81], v[131:132], v[80:81]
	v_add_f64 v[84:85], v[86:87], v[88:89]
	v_fma_f64 v[88:89], v[100:101], -0.5, v[131:132]
	v_fma_f64 v[94:95], v[94:95], s[4:5], v[129:130]
	v_mul_f64 v[129:130], v[139:140], -0.5
	v_add_f64 v[78:79], v[78:79], v[90:91]
	v_add_f64 v[90:91], v[127:128], -v[145:146]
	v_mul_f64 v[127:128], v[143:144], -0.5
	v_mul_f64 v[86:87], v[176:177], 0.5
	v_add_f64 v[82:83], v[194:195], -v[190:191]
	v_fma_f64 v[98:99], v[151:152], s[6:7], v[137:138]
	v_add_f64 v[56:57], v[80:81], v[56:57]
	v_add_f64 v[74:75], v[84:85], v[74:75]
	v_fma_f64 v[84:85], v[76:77], s[6:7], v[88:89]
	v_fma_f64 v[76:77], v[76:77], s[4:5], v[88:89]
	;; [unrolled: 1-line block ×5, first 2 shown]
	v_add_f64 v[192:193], v[194:195], v[190:191]
	v_add_f64 v[137:138], v[96:97], v[78:79]
	;; [unrolled: 1-line block ×3, first 2 shown]
	v_add_f64 v[78:79], v[96:97], -v[78:79]
	v_add_f64 v[96:97], v[124:125], -v[98:99]
	v_add_f64 v[98:99], v[56:57], v[74:75]
	ds_write2_b64 v199, v[82:83], v[90:91] offset0:144 offset1:244
	v_add_f64 v[82:83], v[72:73], v[116:117]
	v_add_f64 v[56:57], v[56:57], -v[74:75]
	v_add_f64 v[74:75], v[76:77], v[88:89]
	v_add_f64 v[86:87], v[94:95], v[100:101]
	v_add_f64 v[94:95], v[94:95], -v[100:101]
	v_add_f64 v[100:101], v[84:85], v[80:81]
	ds_write2_b64 v155, v[186:187], v[192:193] offset1:100
	ds_write2_b64 v200, v[137:138], v[127:128] offset1:100
	ds_write2_b64 v201, v[86:87], v[78:79] offset0:72 offset1:172
	ds_write2_b64 v202, v[96:97], v[94:95] offset0:144 offset1:244
	ds_write2_b64 v203, v[98:99], v[100:101] offset1:100
	v_add_f64 v[72:73], v[133:134], v[72:73]
	v_fma_f64 v[78:79], v[82:83], -0.5, v[133:134]
	v_add_f64 v[58:59], v[58:59], -v[118:119]
	ds_write2_b64 v204, v[74:75], v[56:57] offset0:72 offset1:172
	v_add_f64 v[38:39], v[38:39], v[50:51]
	v_mul_f64 v[56:57], v[135:136], 0.5
	v_add_f64 v[74:75], v[76:77], -v[88:89]
	v_add_f64 v[76:77], v[54:55], v[106:107]
	v_mul_f64 v[82:83], v[153:154], -0.5
	v_add_f64 v[50:51], v[84:85], -v[80:81]
	v_add_f64 v[72:73], v[72:73], v[116:117]
	v_fma_f64 v[80:81], v[58:59], s[6:7], v[78:79]
	v_fma_f64 v[58:59], v[58:59], s[4:5], v[78:79]
	v_add_f64 v[36:37], v[38:39], v[36:37]
	v_fma_f64 v[38:39], v[149:150], s[6:7], v[56:57]
	v_add_f64 v[54:55], v[108:109], v[54:55]
	v_fma_f64 v[56:57], v[76:77], -0.5, v[108:109]
	v_add_f64 v[52:53], v[52:53], -v[114:115]
	v_add_f64 v[48:49], v[48:49], v[110:111]
	v_mul_f64 v[78:79], v[178:179], 0.5
	v_fma_f64 v[76:77], v[174:175], s[6:7], v[82:83]
	v_mul_f64 v[82:83], v[182:183], -0.5
	v_add_f64 v[84:85], v[72:73], v[36:37]
	v_add_f64 v[36:37], v[72:73], -v[36:37]
	v_add_f64 v[54:55], v[54:55], v[106:107]
	v_fma_f64 v[72:73], v[52:53], s[6:7], v[56:57]
	v_add_f64 v[48:49], v[48:49], v[112:113]
	v_fma_f64 v[52:53], v[52:53], s[4:5], v[56:57]
	v_fma_f64 v[56:57], v[180:181], s[6:7], v[78:79]
	;; [unrolled: 1-line block ×3, first 2 shown]
	v_add_f64 v[82:83], v[80:81], v[38:39]
	v_add_f64 v[38:39], v[80:81], -v[38:39]
	v_add_f64 v[80:81], v[58:59], v[76:77]
	v_add_f64 v[58:59], v[58:59], -v[76:77]
	;; [unrolled: 2-line block ×5, first 2 shown]
	s_movk_i32 s0, 0x4000
	s_movk_i32 s1, 0x2000
	ds_write2_b64 v205, v[50:51], v[74:75] offset0:144 offset1:244
	ds_write2_b64 v206, v[84:85], v[82:83] offset1:100
	ds_write2_b64 v207, v[80:81], v[36:37] offset0:72 offset1:172
	ds_write2_b64 v208, v[38:39], v[58:59] offset0:144 offset1:244
	ds_write2_b64 v92, v[76:77], v[54:55] offset1:100
	ds_write2_b64 v209, v[72:73], v[48:49] offset0:72 offset1:172
	ds_write2_b64 v210, v[56:57], v[52:53] offset0:144 offset1:244
	s_waitcnt lgkmcnt(0)
	s_barrier
	s_and_saveexec_b64 s[8:9], vcc
	s_cbranch_execz .LBB0_15
; %bb.14:
	v_mul_u32_u24_e32 v36, 5, v126
	v_lshlrev_b32_e32 v36, 4, v36
	v_mov_b32_e32 v96, s13
	v_add_co_u32_e32 v36, vcc, s12, v36
	v_addc_co_u32_e32 v37, vcc, 0, v96, vcc
	v_add_co_u32_e32 v76, vcc, 0x24e0, v36
	v_addc_co_u32_e32 v77, vcc, 0, v37, vcc
	v_add_co_u32_e32 v78, vcc, 0x2000, v36
	v_addc_co_u32_e32 v79, vcc, 0, v37, vcc
	global_load_dwordx4 v[36:39], v[78:79], off offset:1248
	global_load_dwordx4 v[48:51], v[76:77], off offset:48
	;; [unrolled: 1-line block ×5, first 2 shown]
	v_mov_b32_e32 v76, 0xfffffda8
	v_mad_u32_u24 v92, v126, 5, v76
	v_lshlrev_b64 v[76:77], 4, v[92:93]
	s_movk_i32 s8, 0x24e0
	v_add_co_u32_e32 v76, vcc, s12, v76
	v_addc_co_u32_e32 v77, vcc, v96, v77, vcc
	v_add_co_u32_e32 v80, vcc, s8, v76
	v_addc_co_u32_e32 v81, vcc, 0, v77, vcc
	;; [unrolled: 2-line block ×3, first 2 shown]
	global_load_dwordx4 v[76:79], v[80:81], off offset:16
	global_load_dwordx4 v[88:91], v[80:81], off offset:48
	;; [unrolled: 1-line block ×5, first 2 shown]
	v_mul_lo_u32 v101, s3, v122
	v_mul_lo_u32 v141, s2, v123
	v_mad_u64_u32 v[94:95], s[2:3], s2, v122, 0
	ds_read2_b64 v[114:117], v169 offset0:24 offset1:144
	ds_read2_b64 v[122:125], v171 offset0:72 offset1:192
	;; [unrolled: 1-line block ×4, first 2 shown]
	ds_read_b64 v[118:119], v170 offset:3840
	ds_read_b64 v[143:144], v157 offset:27840
	ds_read2_b64 v[127:130], v167 offset0:72 offset1:192
	ds_read2_b64 v[131:134], v168 offset0:120 offset1:240
	;; [unrolled: 1-line block ×3, first 2 shown]
	v_mov_b32_e32 v92, 0xfffffb50
	v_mad_u32_u24 v92, v126, 5, v92
	v_lshlrev_b64 v[139:140], 4, v[92:93]
	v_add3_u32 v95, v95, v141, v101
	v_add_co_u32_e32 v92, vcc, s12, v139
	v_addc_co_u32_e32 v155, vcc, v96, v140, vcc
	v_add_co_u32_e32 v145, vcc, s8, v92
	v_addc_co_u32_e32 v146, vcc, 0, v155, vcc
	global_load_dwordx4 v[139:142], v[145:146], off offset:32
	s_mov_b32 s2, 0x1b4e81b5
	s_waitcnt vmcnt(10) lgkmcnt(6)
	v_mul_f64 v[153:154], v[38:39], v[80:81]
	s_waitcnt vmcnt(9)
	v_mul_f64 v[151:152], v[46:47], v[50:51]
	s_waitcnt vmcnt(8) lgkmcnt(5)
	v_mul_f64 v[149:150], v[54:55], v[84:85]
	v_mul_f64 v[54:55], v[8:9], v[54:55]
	s_waitcnt vmcnt(6) lgkmcnt(3)
	v_mul_f64 v[164:165], v[74:75], v[143:144]
	v_mul_f64 v[74:75], v[104:105], v[74:75]
	;; [unrolled: 1-line block ×6, first 2 shown]
	v_fma_f64 v[8:9], v[8:9], v[52:53], v[149:150]
	v_fma_f64 v[54:55], v[52:53], v[84:85], -v[54:55]
	v_fma_f64 v[52:53], v[48:49], v[124:125], -v[151:152]
	;; [unrolled: 1-line block ×3, first 2 shown]
	v_fma_f64 v[46:47], v[46:47], v[48:49], v[50:51]
	v_fma_f64 v[4:5], v[4:5], v[36:37], v[153:154]
	v_fma_f64 v[48:49], v[104:105], v[72:73], v[164:165]
	v_fma_f64 v[36:37], v[36:37], v[80:81], -v[38:39]
	v_fma_f64 v[42:43], v[42:43], v[56:57], v[58:59]
	s_waitcnt vmcnt(3) lgkmcnt(2)
	v_mul_f64 v[170:171], v[99:100], v[129:130]
	s_waitcnt vmcnt(2) lgkmcnt(1)
	v_mul_f64 v[172:173], v[108:109], v[133:134]
	v_add_f64 v[38:39], v[54:55], v[74:75]
	s_waitcnt vmcnt(1) lgkmcnt(0)
	v_mul_f64 v[174:175], v[112:113], v[137:138]
	v_mul_f64 v[108:109], v[66:67], v[108:109]
	v_add_f64 v[58:59], v[8:9], v[48:49]
	v_add_f64 v[80:81], v[8:9], -v[48:49]
	v_mul_f64 v[176:177], v[62:63], v[99:100]
	v_fma_f64 v[99:100], v[56:57], v[116:117], -v[147:148]
	v_mul_f64 v[112:113], v[70:71], v[112:113]
	v_fma_f64 v[38:39], v[38:39], -0.5, v[36:37]
	v_fma_f64 v[56:57], v[66:67], v[106:107], v[172:173]
	v_fma_f64 v[66:67], v[70:71], v[110:111], v[174:175]
	v_fma_f64 v[70:71], v[106:107], v[133:134], -v[108:109]
	v_add_f64 v[84:85], v[102:103], v[42:43]
	v_add_f64 v[106:107], v[42:43], -v[46:47]
	v_add_f64 v[108:109], v[54:55], -v[74:75]
	v_add_f64 v[42:43], v[42:43], v[46:47]
	v_fma_f64 v[58:59], v[58:59], -0.5, v[4:5]
	v_add_f64 v[36:37], v[36:37], v[54:55]
	v_fma_f64 v[54:55], v[80:81], s[4:5], v[38:39]
	v_add_f64 v[50:51], v[118:119], v[99:100]
	v_add_f64 v[104:105], v[99:100], v[52:53]
	v_fma_f64 v[38:39], v[80:81], s[6:7], v[38:39]
	v_add_f64 v[80:81], v[99:100], -v[52:53]
	v_fma_f64 v[42:43], v[42:43], -0.5, v[102:103]
	v_fma_f64 v[99:100], v[108:109], s[6:7], v[58:59]
	v_fma_f64 v[58:59], v[108:109], s[4:5], v[58:59]
	v_mul_f64 v[101:102], v[54:55], -0.5
	v_mul_f64 v[54:55], v[54:55], s[4:5]
	v_add_f64 v[52:53], v[50:51], v[52:53]
	v_fma_f64 v[50:51], v[104:105], -0.5, v[118:119]
	v_mul_f64 v[103:104], v[38:39], 0.5
	v_mul_f64 v[166:167], v[40:41], v[78:79]
	v_add_f64 v[4:5], v[4:5], v[8:9]
	v_fma_f64 v[72:73], v[110:111], v[137:138], -v[112:113]
	v_add_f64 v[74:75], v[36:37], v[74:75]
	v_fma_f64 v[147:148], v[99:100], -0.5, v[54:55]
	v_add_co_u32_e32 v54, vcc, s1, v92
	v_addc_co_u32_e32 v55, vcc, 0, v155, vcc
	v_fma_f64 v[124:125], v[106:107], s[4:5], v[50:51]
	v_fma_f64 v[133:134], v[106:107], s[6:7], v[50:51]
	global_load_dwordx4 v[107:110], v[145:146], off offset:16
	v_fma_f64 v[50:51], v[99:100], s[6:7], v[101:102]
	global_load_dwordx4 v[99:102], v[54:55], off offset:1312
	;; [unrolled: 2-line block ×3, first 2 shown]
	v_add_f64 v[4:5], v[4:5], v[48:49]
	v_fma_f64 v[149:150], v[76:77], v[114:115], -v[166:167]
	v_mul_f64 v[48:49], v[114:115], v[78:79]
	global_load_dwordx4 v[111:114], v[145:146], off offset:48
	v_mul_f64 v[36:37], v[38:39], s[4:5]
	v_mul_f64 v[168:169], v[44:45], v[90:91]
	v_add_f64 v[8:9], v[84:85], v[46:47]
	v_fma_f64 v[129:130], v[97:98], v[129:130], -v[176:177]
	v_mul_f64 v[54:55], v[122:123], v[90:91]
	v_fma_f64 v[62:63], v[62:63], v[97:98], v[170:171]
	v_add_f64 v[78:79], v[56:57], v[66:67]
	v_add_f64 v[90:91], v[56:57], -v[66:67]
	v_fma_f64 v[84:85], v[58:59], 0.5, v[36:37]
	v_add_f64 v[58:59], v[70:71], v[72:73]
	v_fma_f64 v[151:152], v[88:89], v[122:123], -v[168:169]
	v_fma_f64 v[76:77], v[40:41], v[76:77], v[48:49]
	v_fma_f64 v[88:89], v[44:45], v[88:89], v[54:55]
	v_add_f64 v[46:47], v[52:53], -v[74:75]
	v_fma_f64 v[78:79], v[78:79], -0.5, v[62:63]
	v_add_f64 v[122:123], v[70:71], -v[72:73]
	ds_read2_b64 v[115:118], v159 offset0:112 offset1:232
	v_fma_f64 v[58:59], v[58:59], -0.5, v[129:130]
	v_add_f64 v[97:98], v[149:150], v[151:152]
	v_add_f64 v[38:39], v[124:125], -v[50:51]
	v_add_f64 v[50:51], v[124:125], v[50:51]
	v_add_f64 v[124:125], v[76:77], -v[88:89]
	v_add_f64 v[56:57], v[62:63], v[56:57]
	v_fma_f64 v[153:154], v[122:123], s[6:7], v[78:79]
	v_fma_f64 v[137:138], v[80:81], s[6:7], v[42:43]
	;; [unrolled: 1-line block ×4, first 2 shown]
	v_add_f64 v[58:59], v[52:53], v[74:75]
	v_add_f64 v[52:53], v[76:77], v[88:89]
	s_waitcnt lgkmcnt(0)
	v_fma_f64 v[97:98], v[97:98], -0.5, v[117:118]
	v_fma_f64 v[80:81], v[80:81], s[4:5], v[42:43]
	v_add_f64 v[42:43], v[133:134], -v[143:144]
	v_add_f64 v[54:55], v[133:134], v[143:144]
	v_mul_f64 v[164:165], v[145:146], -0.5
	v_fma_f64 v[74:75], v[122:123], s[4:5], v[78:79]
	v_mul_f64 v[78:79], v[90:91], 0.5
	v_fma_f64 v[52:53], v[52:53], -0.5, v[34:35]
	v_add_f64 v[34:35], v[34:35], v[76:77]
	v_fma_f64 v[133:134], v[124:125], s[4:5], v[97:98]
	v_fma_f64 v[97:98], v[124:125], s[6:7], v[97:98]
	v_add_f64 v[124:125], v[149:150], -v[151:152]
	v_fma_f64 v[122:123], v[153:154], s[6:7], v[164:165]
	v_add_f64 v[117:118], v[117:118], v[149:150]
	v_add_f64 v[70:71], v[129:130], v[70:71]
	v_add_f64 v[44:45], v[8:9], -v[4:5]
	v_add_f64 v[34:35], v[34:35], v[88:89]
	v_add_f64 v[88:89], v[56:57], v[66:67]
	v_mov_b32_e32 v66, 0xfffff8f8
	v_mul_f64 v[129:130], v[145:146], s[4:5]
	v_add_f64 v[56:57], v[8:9], v[4:5]
	s_waitcnt vmcnt(4)
	v_mul_f64 v[8:9], v[64:65], v[141:142]
	v_mad_u32_u24 v92, v126, 5, v66
	v_lshlrev_b64 v[66:67], 4, v[92:93]
	v_add_f64 v[40:41], v[80:81], -v[84:85]
	v_add_co_u32_e32 v92, vcc, s12, v66
	v_fma_f64 v[167:168], v[124:125], s[6:7], v[52:53]
	v_fma_f64 v[169:170], v[124:125], s[4:5], v[52:53]
	v_add_f64 v[52:53], v[80:81], v[84:85]
	v_addc_co_u32_e32 v119, vcc, v96, v67, vcc
	v_add_co_u32_e32 v66, vcc, s8, v92
	v_addc_co_u32_e32 v67, vcc, 0, v119, vcc
	v_add_f64 v[36:37], v[137:138], -v[147:148]
	v_add_f64 v[48:49], v[137:138], v[147:148]
	v_fma_f64 v[137:138], v[74:75], s[6:7], v[78:79]
	v_mul_f64 v[78:79], v[90:91], s[4:5]
	v_add_f64 v[90:91], v[117:118], v[151:152]
	v_add_f64 v[117:118], v[70:71], v[72:73]
	v_add_f64 v[72:73], v[133:134], -v[122:123]
	v_add_f64 v[62:63], v[133:134], v[122:123]
	s_waitcnt vmcnt(2)
	v_mul_f64 v[84:85], v[101:102], v[135:136]
	v_mul_f64 v[101:102], v[68:69], v[101:102]
	v_add_co_u32_e32 v133, vcc, s1, v92
	v_fma_f64 v[153:154], v[153:154], -0.5, v[129:130]
	ds_read2_b64 v[122:125], v163 offset0:40 offset1:160
	v_mul_f64 v[4:5], v[141:142], v[131:132]
	global_load_dwordx4 v[141:144], v[66:67], off offset:16
	v_fma_f64 v[8:9], v[139:140], v[131:132], -v[8:9]
	v_addc_co_u32_e32 v134, vcc, 0, v119, vcc
	global_load_dwordx4 v[129:132], v[66:67], off offset:48
	global_load_dwordx4 v[145:148], v[66:67], off offset:32
	;; [unrolled: 1-line block ×4, first 2 shown]
	s_waitcnt vmcnt(6)
	v_mul_f64 v[173:174], v[60:61], v[105:106]
	v_fma_f64 v[101:102], v[99:100], v[135:136], -v[101:102]
	v_mul_f64 v[175:176], v[26:27], v[109:110]
	s_waitcnt vmcnt(5)
	v_mul_f64 v[177:178], v[30:31], v[113:114]
	ds_read2_b64 v[133:136], v162 offset0:88 offset1:208
	v_mul_f64 v[105:106], v[105:106], v[127:128]
	v_fma_f64 v[4:5], v[64:65], v[139:140], v[4:5]
	v_fma_f64 v[68:69], v[68:69], v[99:100], v[84:85]
	v_fma_f64 v[84:85], v[103:104], v[127:128], -v[173:174]
	v_add_f64 v[64:65], v[8:9], v[101:102]
	v_add_f64 v[76:77], v[97:98], -v[137:138]
	v_add_f64 v[66:67], v[97:98], v[137:138]
	s_waitcnt lgkmcnt(1)
	v_fma_f64 v[97:98], v[107:108], v[124:125], -v[175:176]
	s_waitcnt lgkmcnt(0)
	v_fma_f64 v[99:100], v[111:112], v[135:136], -v[177:178]
	v_mul_f64 v[109:110], v[124:125], v[109:110]
	v_mul_f64 v[113:114], v[135:136], v[113:114]
	v_fma_f64 v[139:140], v[60:61], v[103:104], v[105:106]
	v_add_f64 v[103:104], v[4:5], v[68:69]
	v_fma_f64 v[105:106], v[64:65], -0.5, v[84:85]
	v_add_f64 v[124:125], v[4:5], -v[68:69]
	v_add_f64 v[80:81], v[90:91], -v[117:118]
	v_add_f64 v[90:91], v[90:91], v[117:118]
	v_add_f64 v[117:118], v[97:98], v[99:100]
	v_fma_f64 v[26:27], v[26:27], v[107:108], v[109:110]
	v_fma_f64 v[30:31], v[30:31], v[111:112], v[113:114]
	v_fma_f64 v[103:104], v[103:104], -0.5, v[139:140]
	v_add_f64 v[107:108], v[8:9], -v[101:102]
	v_fma_f64 v[109:110], v[124:125], s[4:5], v[105:106]
	v_fma_f64 v[171:172], v[74:75], 0.5, v[78:79]
	v_add_f64 v[78:79], v[34:35], -v[88:89]
	v_fma_f64 v[105:106], v[124:125], s[6:7], v[105:106]
	v_add_f64 v[88:89], v[34:35], v[88:89]
	v_fma_f64 v[34:35], v[117:118], -0.5, v[115:116]
	v_add_f64 v[113:114], v[26:27], -v[30:31]
	v_fma_f64 v[117:118], v[107:108], s[6:7], v[103:104]
	v_mul_f64 v[124:125], v[109:110], -0.5
	v_add_f64 v[111:112], v[26:27], v[30:31]
	v_add_f64 v[70:71], v[167:168], -v[153:154]
	v_add_f64 v[60:61], v[167:168], v[153:154]
	v_fma_f64 v[126:127], v[107:108], s[4:5], v[103:104]
	v_mul_f64 v[103:104], v[105:106], 0.5
	v_add_f64 v[107:108], v[115:116], v[97:98]
	v_add_f64 v[8:9], v[84:85], v[8:9]
	v_add_f64 v[115:116], v[97:98], -v[99:100]
	v_mul_f64 v[97:98], v[109:110], s[4:5]
	v_fma_f64 v[153:154], v[113:114], s[4:5], v[34:35]
	v_fma_f64 v[173:174], v[113:114], s[6:7], v[34:35]
	v_mul_u32_u24_e32 v34, 5, v156
	v_lshlrev_b32_e32 v34, 4, v34
	v_add_co_u32_e32 v34, vcc, s12, v34
	v_addc_co_u32_e32 v35, vcc, 0, v96, vcc
	v_add_f64 v[74:75], v[169:170], -v[171:172]
	v_add_f64 v[64:65], v[169:170], v[171:172]
	v_fma_f64 v[171:172], v[117:118], s[6:7], v[124:125]
	v_add_co_u32_e32 v124, vcc, s8, v34
	v_addc_co_u32_e32 v125, vcc, 0, v35, vcc
	v_fma_f64 v[84:85], v[111:112], -0.5, v[32:33]
	v_add_co_u32_e32 v112, vcc, s1, v34
	v_addc_co_u32_e32 v113, vcc, 0, v35, vcc
	v_fma_f64 v[175:176], v[126:127], s[6:7], v[103:104]
	v_add_f64 v[177:178], v[107:108], v[99:100]
	v_add_f64 v[8:9], v[8:9], v[101:102]
	v_fma_f64 v[181:182], v[117:118], -0.5, v[97:98]
	global_load_dwordx4 v[96:99], v[124:125], off offset:32
	global_load_dwordx4 v[100:103], v[112:113], off offset:1312
	v_mul_f64 v[108:109], v[105:106], s[4:5]
	v_fma_f64 v[179:180], v[115:116], s[6:7], v[84:85]
	v_fma_f64 v[84:85], v[115:116], s[4:5], v[84:85]
	global_load_dwordx4 v[112:115], v[112:113], off offset:1248
	v_add_f64 v[26:27], v[32:33], v[26:27]
	v_add_f64 v[4:5], v[139:140], v[4:5]
	s_waitcnt vmcnt(7)
	v_mul_f64 v[139:140], v[24:25], v[143:144]
	v_add_f64 v[110:111], v[177:178], -v[8:9]
	v_fma_f64 v[183:184], v[126:127], 0.5, v[108:109]
	global_load_dwordx4 v[116:119], v[124:125], off offset:16
	s_nop 0
	global_load_dwordx4 v[124:127], v[124:125], off offset:48
	s_waitcnt vmcnt(7)
	v_mul_f64 v[108:109], v[18:19], v[147:148]
	s_waitcnt vmcnt(5)
	v_mul_f64 v[185:186], v[22:23], v[165:166]
	ds_read2_b64 v[135:138], v158 offset0:8 offset1:128
	ds_read2_b64 v[167:170], v161 offset0:56 offset1:176
	v_add_f64 v[30:31], v[26:27], v[30:31]
	ds_read2_b64 v[158:161], v160 offset0:88 offset1:208
	v_add_f64 v[4:5], v[4:5], v[68:69]
	s_waitcnt lgkmcnt(2)
	v_mul_f64 v[26:27], v[147:148], v[137:138]
	s_waitcnt lgkmcnt(1)
	v_mul_f64 v[147:148], v[165:166], v[169:170]
	v_fma_f64 v[137:138], v[145:146], v[137:138], -v[108:109]
	v_mul_f64 v[108:109], v[14:15], v[151:152]
	v_fma_f64 v[165:166], v[163:164], v[169:170], -v[185:186]
	v_mul_f64 v[169:170], v[28:29], v[131:132]
	s_waitcnt lgkmcnt(0)
	v_mul_f64 v[151:152], v[151:152], v[160:161]
	v_fma_f64 v[68:69], v[141:142], v[122:123], -v[139:140]
	v_fma_f64 v[18:19], v[18:19], v[145:146], v[26:27]
	v_fma_f64 v[145:146], v[22:23], v[163:164], v[147:148]
	v_mul_f64 v[122:123], v[122:123], v[143:144]
	v_fma_f64 v[22:23], v[149:150], v[160:161], -v[108:109]
	v_add_f64 v[26:27], v[137:138], v[165:166]
	v_fma_f64 v[147:148], v[129:130], v[133:134], -v[169:170]
	v_mul_f64 v[139:140], v[133:134], v[131:132]
	v_fma_f64 v[143:144], v[14:15], v[149:150], v[151:152]
	ds_read2_b64 v[131:134], v157 offset1:120
	v_add_f64 v[14:15], v[18:19], v[145:146]
	v_add_f64 v[149:150], v[18:19], -v[145:146]
	v_fma_f64 v[122:123], v[24:25], v[141:142], v[122:123]
	v_fma_f64 v[26:27], v[26:27], -0.5, v[22:23]
	v_add_f64 v[151:152], v[68:69], v[147:148]
	v_fma_f64 v[128:129], v[28:29], v[129:130], v[139:140]
	v_add_f64 v[141:142], v[137:138], -v[165:166]
	v_add_f64 v[139:140], v[177:178], v[8:9]
	v_fma_f64 v[14:15], v[14:15], -0.5, v[143:144]
	v_add_f64 v[106:107], v[153:154], -v[171:172]
	v_add_f64 v[32:33], v[84:85], -v[183:184]
	v_fma_f64 v[160:161], v[149:150], s[4:5], v[26:27]
	v_fma_f64 v[149:150], v[149:150], s[6:7], v[26:27]
	s_waitcnt lgkmcnt(0)
	v_fma_f64 v[8:9], v[151:152], -0.5, v[133:134]
	v_add_f64 v[26:27], v[122:123], -v[128:129]
	v_add_f64 v[24:25], v[153:154], v[171:172]
	v_fma_f64 v[151:152], v[141:142], s[6:7], v[14:15]
	v_add_f64 v[137:138], v[22:23], v[137:138]
	v_add_f64 v[108:109], v[30:31], -v[4:5]
	v_mul_f64 v[153:154], v[160:161], -0.5
	v_fma_f64 v[141:142], v[141:142], s[4:5], v[14:15]
	v_mul_f64 v[14:15], v[149:150], 0.5
	v_fma_f64 v[169:170], v[26:27], s[4:5], v[8:9]
	v_fma_f64 v[171:172], v[26:27], s[6:7], v[8:9]
	v_add_f64 v[26:27], v[84:85], v[183:184]
	v_mul_f64 v[84:85], v[160:161], s[4:5]
	v_add_f64 v[162:163], v[122:123], v[128:129]
	v_fma_f64 v[153:154], v[151:152], s[6:7], v[153:154]
	v_add_f64 v[164:165], v[137:138], v[165:166]
	v_add_f64 v[137:138], v[30:31], v[4:5]
	v_mul_f64 v[30:31], v[149:150], s[4:5]
	v_add_f64 v[34:35], v[173:174], -v[175:176]
	v_add_f64 v[28:29], v[173:174], v[175:176]
	v_fma_f64 v[151:152], v[151:152], -0.5, v[84:85]
	v_fma_f64 v[173:174], v[141:142], s[6:7], v[14:15]
	v_fma_f64 v[162:163], v[162:163], -0.5, v[2:3]
	v_add_f64 v[2:3], v[2:3], v[122:123]
	v_add_f64 v[133:134], v[133:134], v[68:69]
	v_fma_f64 v[30:31], v[141:142], 0.5, v[30:31]
	v_add_f64 v[18:19], v[143:144], v[18:19]
	v_add_f64 v[68:69], v[68:69], -v[147:148]
	v_add_f64 v[4:5], v[169:170], -v[153:154]
	;; [unrolled: 1-line block ×3, first 2 shown]
	v_add_f64 v[22:23], v[179:180], v[181:182]
	s_waitcnt vmcnt(4)
	v_mul_f64 v[149:150], v[16:17], v[98:99]
	s_waitcnt vmcnt(3)
	v_mul_f64 v[84:85], v[20:21], v[102:103]
	v_mul_f64 v[98:99], v[98:99], v[135:136]
	;; [unrolled: 1-line block ×3, first 2 shown]
	v_add_f64 v[133:134], v[133:134], v[147:148]
	v_fma_f64 v[147:148], v[68:69], s[6:7], v[162:163]
	v_fma_f64 v[68:69], v[68:69], s[4:5], v[162:163]
	v_add_f64 v[104:105], v[179:180], -v[181:182]
	v_fma_f64 v[122:123], v[96:97], v[135:136], -v[149:150]
	s_waitcnt vmcnt(2)
	v_mul_f64 v[135:136], v[12:13], v[114:115]
	v_fma_f64 v[141:142], v[100:101], v[167:168], -v[84:85]
	s_waitcnt vmcnt(1)
	v_mul_f64 v[84:85], v[6:7], v[118:119]
	s_waitcnt vmcnt(0)
	v_mul_f64 v[149:150], v[10:11], v[126:127]
	v_mul_f64 v[114:115], v[114:115], v[158:159]
	v_fma_f64 v[96:97], v[16:17], v[96:97], v[98:99]
	v_fma_f64 v[20:21], v[20:21], v[100:101], v[102:103]
	v_add_f64 v[14:15], v[133:134], -v[164:165]
	v_fma_f64 v[100:101], v[112:113], v[158:159], -v[135:136]
	v_add_f64 v[16:17], v[122:123], v[141:142]
	v_fma_f64 v[102:103], v[116:117], v[82:83], -v[84:85]
	v_mul_f64 v[82:83], v[82:83], v[118:119]
	v_mul_f64 v[84:85], v[86:87], v[126:127]
	v_fma_f64 v[135:136], v[124:125], v[86:87], -v[149:150]
	v_fma_f64 v[86:87], v[12:13], v[112:113], v[114:115]
	v_add_f64 v[12:13], v[96:97], v[20:21]
	v_add_f64 v[98:99], v[96:97], -v[20:21]
	v_fma_f64 v[16:17], v[16:17], -0.5, v[100:101]
	v_add_f64 v[114:115], v[18:19], v[145:146]
	v_fma_f64 v[82:83], v[6:7], v[116:117], v[82:83]
	v_fma_f64 v[10:11], v[10:11], v[124:125], v[84:85]
	v_add_f64 v[118:119], v[102:103], v[135:136]
	v_add_f64 v[124:125], v[122:123], -v[141:142]
	v_fma_f64 v[116:117], v[12:13], -0.5, v[86:87]
	v_add_f64 v[112:113], v[2:3], v[128:129]
	v_fma_f64 v[145:146], v[98:99], s[6:7], v[16:17]
	v_fma_f64 v[126:127], v[98:99], s[4:5], v[16:17]
	v_add_f64 v[98:99], v[133:134], v[164:165]
	v_add_f64 v[133:134], v[82:83], v[10:11]
	v_fma_f64 v[118:119], v[118:119], -0.5, v[131:132]
	v_add_f64 v[128:129], v[82:83], -v[10:11]
	v_fma_f64 v[143:144], v[124:125], s[6:7], v[116:117]
	v_fma_f64 v[116:117], v[124:125], s[4:5], v[116:117]
	v_mul_f64 v[124:125], v[145:146], 0.5
	v_add_f64 v[100:101], v[100:101], v[122:123]
	v_add_f64 v[2:3], v[147:148], -v[151:152]
	v_fma_f64 v[122:123], v[133:134], -0.5, v[0:1]
	v_add_f64 v[0:1], v[0:1], v[82:83]
	v_add_f64 v[82:83], v[86:87], v[96:97]
	v_mul_f64 v[149:150], v[126:127], -0.5
	v_add_f64 v[16:17], v[147:148], v[151:152]
	v_fma_f64 v[147:148], v[128:129], s[4:5], v[118:119]
	v_fma_f64 v[128:129], v[128:129], s[6:7], v[118:119]
	v_add_f64 v[118:119], v[131:132], v[102:103]
	v_add_f64 v[102:103], v[102:103], -v[135:136]
	v_mul_f64 v[126:127], v[126:127], s[4:5]
	v_fma_f64 v[130:131], v[116:117], s[6:7], v[124:125]
	v_mul_f64 v[124:125], v[145:146], s[4:5]
	v_add_f64 v[0:1], v[0:1], v[10:11]
	v_add_f64 v[10:11], v[82:83], v[20:21]
	v_mul_hi_u32 v20, v156, s2
	v_fma_f64 v[149:150], v[143:144], s[6:7], v[149:150]
	v_add_f64 v[86:87], v[118:119], v[135:136]
	v_add_f64 v[132:133], v[100:101], v[141:142]
	v_fma_f64 v[134:135], v[102:103], s[6:7], v[122:123]
	v_fma_f64 v[126:127], v[143:144], -0.5, v[126:127]
	v_fma_f64 v[141:142], v[102:103], s[4:5], v[122:123]
	v_fma_f64 v[143:144], v[116:117], 0.5, v[124:125]
	v_add_f64 v[12:13], v[112:113], -v[114:115]
	v_add_f64 v[96:97], v[112:113], v[114:115]
	v_add_f64 v[114:115], v[128:129], -v[130:131]
	v_add_f64 v[116:117], v[0:1], -v[10:11]
	v_add_f64 v[128:129], v[128:129], v[130:131]
	v_add_f64 v[130:131], v[0:1], v[10:11]
	v_lshrrev_b32_e32 v0, 6, v20
	v_mul_u32_u24_e32 v0, 0x258, v0
	v_sub_u32_e32 v10, v156, v0
	v_lshlrev_b64 v[0:1], 4, v[94:95]
	v_mov_b32_e32 v11, s11
	v_add_co_u32_e32 v20, vcc, s10, v0
	v_add_f64 v[100:101], v[134:135], -v[126:127]
	v_add_f64 v[122:123], v[134:135], v[126:127]
	v_add_f64 v[126:127], v[141:142], v[143:144]
	v_addc_co_u32_e32 v11, vcc, v11, v1, vcc
	v_lshlrev_b64 v[0:1], 4, v[120:121]
	v_add_f64 v[124:125], v[147:148], v[149:150]
	v_add_co_u32_e32 v20, vcc, v20, v0
	v_addc_co_u32_e32 v21, vcc, v11, v1, vcc
	v_lshlrev_b32_e32 v0, 4, v10
	v_add_f64 v[118:119], v[86:87], -v[132:133]
	v_add_co_u32_e32 v0, vcc, v20, v0
	v_addc_co_u32_e32 v1, vcc, 0, v21, vcc
	v_add_f64 v[112:113], v[141:142], -v[143:144]
	v_add_co_u32_e32 v10, vcc, s1, v0
	v_addc_co_u32_e32 v11, vcc, 0, v1, vcc
	global_store_dwordx4 v[10:11], v[126:129], off offset:1408
	v_add_co_u32_e32 v10, vcc, s0, v0
	v_add_f64 v[132:133], v[86:87], v[132:133]
	v_addc_co_u32_e32 v11, vcc, 0, v1, vcc
	s_movk_i32 s0, 0x7000
	global_store_dwordx4 v[10:11], v[122:125], off offset:2816
	v_add_co_u32_e32 v10, vcc, s0, v0
	v_add_f64 v[102:103], v[147:148], -v[149:150]
	v_addc_co_u32_e32 v11, vcc, 0, v1, vcc
	s_mov_b32 s0, 0x9000
	global_store_dwordx4 v[10:11], v[116:119], off offset:128
	v_add_co_u32_e32 v10, vcc, s0, v0
	v_addc_co_u32_e32 v11, vcc, 0, v1, vcc
	global_store_dwordx4 v[10:11], v[112:115], off offset:1536
	v_add_u32_e32 v10, 0x78, v156
	v_mul_hi_u32 v11, v10, s2
	s_mov_b32 s0, 0xb000
	global_store_dwordx4 v[0:1], v[130:133], off
	v_add_co_u32_e32 v0, vcc, s0, v0
	v_addc_co_u32_e32 v1, vcc, 0, v1, vcc
	global_store_dwordx4 v[0:1], v[100:103], off offset:2944
	v_lshrrev_b32_e32 v0, 6, v11
	v_mul_u32_u24_e32 v1, 0x258, v0
	v_sub_u32_e32 v1, v10, v1
	s_movk_i32 s0, 0xe10
	v_mad_u32_u24 v92, v0, s0, v1
	v_lshlrev_b64 v[0:1], 4, v[92:93]
	v_add_f64 v[84:85], v[171:172], v[173:174]
	v_add_f64 v[82:83], v[68:69], v[30:31]
	v_add_co_u32_e32 v0, vcc, v20, v0
	v_addc_co_u32_e32 v1, vcc, v21, v1, vcc
	global_store_dwordx4 v[0:1], v[96:99], off
	v_add_u32_e32 v0, 0x258, v92
	v_mov_b32_e32 v1, v93
	v_lshlrev_b64 v[0:1], 4, v[0:1]
	v_add_f64 v[18:19], v[169:170], v[153:154]
	v_add_co_u32_e32 v0, vcc, v20, v0
	v_addc_co_u32_e32 v1, vcc, v21, v1, vcc
	global_store_dwordx4 v[0:1], v[82:85], off
	v_add_u32_e32 v0, 0x4b0, v92
	v_mov_b32_e32 v1, v93
	v_lshlrev_b64 v[0:1], 4, v[0:1]
	v_add_f64 v[6:7], v[68:69], -v[30:31]
	v_add_co_u32_e32 v0, vcc, v20, v0
	v_addc_co_u32_e32 v1, vcc, v21, v1, vcc
	global_store_dwordx4 v[0:1], v[16:19], off
	v_add_u32_e32 v0, 0x708, v92
	v_mov_b32_e32 v1, v93
	v_lshlrev_b64 v[0:1], 4, v[0:1]
	v_add_co_u32_e32 v0, vcc, v20, v0
	v_addc_co_u32_e32 v1, vcc, v21, v1, vcc
	global_store_dwordx4 v[0:1], v[12:15], off
	v_add_u32_e32 v0, 0x960, v92
	v_mov_b32_e32 v1, v93
	v_lshlrev_b64 v[0:1], 4, v[0:1]
	v_add_u32_e32 v92, 0xbb8, v92
	v_add_co_u32_e32 v0, vcc, v20, v0
	v_addc_co_u32_e32 v1, vcc, v21, v1, vcc
	global_store_dwordx4 v[0:1], v[6:9], off
	v_lshlrev_b64 v[0:1], 4, v[92:93]
	v_add_u32_e32 v6, 0xf0, v156
	v_mul_hi_u32 v7, v6, s2
	v_add_co_u32_e32 v0, vcc, v20, v0
	v_addc_co_u32_e32 v1, vcc, v21, v1, vcc
	global_store_dwordx4 v[0:1], v[2:5], off
	v_lshrrev_b32_e32 v0, 6, v7
	v_mul_u32_u24_e32 v1, 0x258, v0
	v_sub_u32_e32 v1, v6, v1
	v_mad_u32_u24 v92, v0, s0, v1
	v_lshlrev_b64 v[0:1], 4, v[92:93]
	v_add_u32_e32 v2, 0x168, v156
	v_add_co_u32_e32 v0, vcc, v20, v0
	v_addc_co_u32_e32 v1, vcc, v21, v1, vcc
	global_store_dwordx4 v[0:1], v[137:140], off
	v_add_u32_e32 v0, 0x258, v92
	v_mov_b32_e32 v1, v93
	v_lshlrev_b64 v[0:1], 4, v[0:1]
	v_mul_hi_u32 v3, v2, s2
	v_add_co_u32_e32 v0, vcc, v20, v0
	v_addc_co_u32_e32 v1, vcc, v21, v1, vcc
	global_store_dwordx4 v[0:1], v[26:29], off
	v_add_u32_e32 v0, 0x4b0, v92
	v_mov_b32_e32 v1, v93
	v_lshlrev_b64 v[0:1], 4, v[0:1]
	v_add_co_u32_e32 v0, vcc, v20, v0
	v_addc_co_u32_e32 v1, vcc, v21, v1, vcc
	global_store_dwordx4 v[0:1], v[22:25], off
	v_add_u32_e32 v0, 0x708, v92
	v_mov_b32_e32 v1, v93
	v_lshlrev_b64 v[0:1], 4, v[0:1]
	;; [unrolled: 6-line block ×3, first 2 shown]
	v_add_u32_e32 v92, 0xbb8, v92
	v_add_co_u32_e32 v0, vcc, v20, v0
	v_addc_co_u32_e32 v1, vcc, v21, v1, vcc
	global_store_dwordx4 v[0:1], v[32:35], off
	v_lshlrev_b64 v[0:1], 4, v[92:93]
	v_add_co_u32_e32 v0, vcc, v20, v0
	v_addc_co_u32_e32 v1, vcc, v21, v1, vcc
	global_store_dwordx4 v[0:1], v[104:107], off
	v_lshrrev_b32_e32 v0, 6, v3
	v_mul_u32_u24_e32 v1, 0x258, v0
	v_sub_u32_e32 v1, v2, v1
	v_mad_u32_u24 v92, v0, s0, v1
	v_lshlrev_b64 v[0:1], 4, v[92:93]
	v_add_u32_e32 v2, 0x1e0, v156
	v_add_co_u32_e32 v0, vcc, v20, v0
	v_addc_co_u32_e32 v1, vcc, v21, v1, vcc
	global_store_dwordx4 v[0:1], v[88:91], off
	v_add_u32_e32 v0, 0x258, v92
	v_mov_b32_e32 v1, v93
	v_lshlrev_b64 v[0:1], 4, v[0:1]
	v_mul_hi_u32 v3, v2, s2
	v_add_co_u32_e32 v0, vcc, v20, v0
	v_addc_co_u32_e32 v1, vcc, v21, v1, vcc
	global_store_dwordx4 v[0:1], v[64:67], off
	v_add_u32_e32 v0, 0x4b0, v92
	v_mov_b32_e32 v1, v93
	v_lshlrev_b64 v[0:1], 4, v[0:1]
	v_add_co_u32_e32 v0, vcc, v20, v0
	v_addc_co_u32_e32 v1, vcc, v21, v1, vcc
	global_store_dwordx4 v[0:1], v[60:63], off
	v_add_u32_e32 v0, 0x708, v92
	v_mov_b32_e32 v1, v93
	v_lshlrev_b64 v[0:1], 4, v[0:1]
	;; [unrolled: 6-line block ×3, first 2 shown]
	v_add_u32_e32 v92, 0xbb8, v92
	v_add_co_u32_e32 v0, vcc, v20, v0
	v_addc_co_u32_e32 v1, vcc, v21, v1, vcc
	global_store_dwordx4 v[0:1], v[74:77], off
	v_lshlrev_b64 v[0:1], 4, v[92:93]
	v_add_co_u32_e32 v0, vcc, v20, v0
	v_addc_co_u32_e32 v1, vcc, v21, v1, vcc
	global_store_dwordx4 v[0:1], v[70:73], off
	v_lshrrev_b32_e32 v0, 6, v3
	v_mul_u32_u24_e32 v1, 0x258, v0
	v_sub_u32_e32 v1, v2, v1
	v_mad_u32_u24 v92, v0, s0, v1
	v_lshlrev_b64 v[0:1], 4, v[92:93]
	v_add_co_u32_e32 v0, vcc, v20, v0
	v_addc_co_u32_e32 v1, vcc, v21, v1, vcc
	global_store_dwordx4 v[0:1], v[56:59], off
	v_add_u32_e32 v0, 0x258, v92
	v_mov_b32_e32 v1, v93
	v_lshlrev_b64 v[0:1], 4, v[0:1]
	v_add_co_u32_e32 v0, vcc, v20, v0
	v_addc_co_u32_e32 v1, vcc, v21, v1, vcc
	global_store_dwordx4 v[0:1], v[52:55], off
	v_add_u32_e32 v0, 0x4b0, v92
	v_mov_b32_e32 v1, v93
	;; [unrolled: 6-line block ×4, first 2 shown]
	v_lshlrev_b64 v[0:1], 4, v[0:1]
	v_add_u32_e32 v92, 0xbb8, v92
	v_add_co_u32_e32 v0, vcc, v20, v0
	v_addc_co_u32_e32 v1, vcc, v21, v1, vcc
	global_store_dwordx4 v[0:1], v[40:43], off
	v_lshlrev_b64 v[0:1], 4, v[92:93]
	v_add_co_u32_e32 v0, vcc, v20, v0
	v_addc_co_u32_e32 v1, vcc, v21, v1, vcc
	global_store_dwordx4 v[0:1], v[36:39], off
.LBB0_15:
	s_endpgm
	.section	.rodata,"a",@progbits
	.p2align	6, 0x0
	.amdhsa_kernel fft_rtc_back_len3600_factors_10_10_6_6_wgs_120_tpt_120_halfLds_dp_op_CI_CI_unitstride_sbrr_dirReg
		.amdhsa_group_segment_fixed_size 0
		.amdhsa_private_segment_fixed_size 0
		.amdhsa_kernarg_size 104
		.amdhsa_user_sgpr_count 6
		.amdhsa_user_sgpr_private_segment_buffer 1
		.amdhsa_user_sgpr_dispatch_ptr 0
		.amdhsa_user_sgpr_queue_ptr 0
		.amdhsa_user_sgpr_kernarg_segment_ptr 1
		.amdhsa_user_sgpr_dispatch_id 0
		.amdhsa_user_sgpr_flat_scratch_init 0
		.amdhsa_user_sgpr_private_segment_size 0
		.amdhsa_uses_dynamic_stack 0
		.amdhsa_system_sgpr_private_segment_wavefront_offset 0
		.amdhsa_system_sgpr_workgroup_id_x 1
		.amdhsa_system_sgpr_workgroup_id_y 0
		.amdhsa_system_sgpr_workgroup_id_z 0
		.amdhsa_system_sgpr_workgroup_info 0
		.amdhsa_system_vgpr_workitem_id 0
		.amdhsa_next_free_vgpr 222
		.amdhsa_next_free_sgpr 28
		.amdhsa_reserve_vcc 1
		.amdhsa_reserve_flat_scratch 0
		.amdhsa_float_round_mode_32 0
		.amdhsa_float_round_mode_16_64 0
		.amdhsa_float_denorm_mode_32 3
		.amdhsa_float_denorm_mode_16_64 3
		.amdhsa_dx10_clamp 1
		.amdhsa_ieee_mode 1
		.amdhsa_fp16_overflow 0
		.amdhsa_exception_fp_ieee_invalid_op 0
		.amdhsa_exception_fp_denorm_src 0
		.amdhsa_exception_fp_ieee_div_zero 0
		.amdhsa_exception_fp_ieee_overflow 0
		.amdhsa_exception_fp_ieee_underflow 0
		.amdhsa_exception_fp_ieee_inexact 0
		.amdhsa_exception_int_div_zero 0
	.end_amdhsa_kernel
	.text
.Lfunc_end0:
	.size	fft_rtc_back_len3600_factors_10_10_6_6_wgs_120_tpt_120_halfLds_dp_op_CI_CI_unitstride_sbrr_dirReg, .Lfunc_end0-fft_rtc_back_len3600_factors_10_10_6_6_wgs_120_tpt_120_halfLds_dp_op_CI_CI_unitstride_sbrr_dirReg
                                        ; -- End function
	.section	.AMDGPU.csdata,"",@progbits
; Kernel info:
; codeLenInByte = 20248
; NumSgprs: 32
; NumVgprs: 222
; ScratchSize: 0
; MemoryBound: 1
; FloatMode: 240
; IeeeMode: 1
; LDSByteSize: 0 bytes/workgroup (compile time only)
; SGPRBlocks: 3
; VGPRBlocks: 55
; NumSGPRsForWavesPerEU: 32
; NumVGPRsForWavesPerEU: 222
; Occupancy: 1
; WaveLimiterHint : 1
; COMPUTE_PGM_RSRC2:SCRATCH_EN: 0
; COMPUTE_PGM_RSRC2:USER_SGPR: 6
; COMPUTE_PGM_RSRC2:TRAP_HANDLER: 0
; COMPUTE_PGM_RSRC2:TGID_X_EN: 1
; COMPUTE_PGM_RSRC2:TGID_Y_EN: 0
; COMPUTE_PGM_RSRC2:TGID_Z_EN: 0
; COMPUTE_PGM_RSRC2:TIDIG_COMP_CNT: 0
	.type	__hip_cuid_545be4eabd2f572e,@object ; @__hip_cuid_545be4eabd2f572e
	.section	.bss,"aw",@nobits
	.globl	__hip_cuid_545be4eabd2f572e
__hip_cuid_545be4eabd2f572e:
	.byte	0                               ; 0x0
	.size	__hip_cuid_545be4eabd2f572e, 1

	.ident	"AMD clang version 19.0.0git (https://github.com/RadeonOpenCompute/llvm-project roc-6.4.0 25133 c7fe45cf4b819c5991fe208aaa96edf142730f1d)"
	.section	".note.GNU-stack","",@progbits
	.addrsig
	.addrsig_sym __hip_cuid_545be4eabd2f572e
	.amdgpu_metadata
---
amdhsa.kernels:
  - .args:
      - .actual_access:  read_only
        .address_space:  global
        .offset:         0
        .size:           8
        .value_kind:     global_buffer
      - .offset:         8
        .size:           8
        .value_kind:     by_value
      - .actual_access:  read_only
        .address_space:  global
        .offset:         16
        .size:           8
        .value_kind:     global_buffer
      - .actual_access:  read_only
        .address_space:  global
        .offset:         24
        .size:           8
        .value_kind:     global_buffer
      - .actual_access:  read_only
        .address_space:  global
        .offset:         32
        .size:           8
        .value_kind:     global_buffer
      - .offset:         40
        .size:           8
        .value_kind:     by_value
      - .actual_access:  read_only
        .address_space:  global
        .offset:         48
        .size:           8
        .value_kind:     global_buffer
      - .actual_access:  read_only
        .address_space:  global
        .offset:         56
        .size:           8
        .value_kind:     global_buffer
      - .offset:         64
        .size:           4
        .value_kind:     by_value
      - .actual_access:  read_only
        .address_space:  global
        .offset:         72
        .size:           8
        .value_kind:     global_buffer
      - .actual_access:  read_only
        .address_space:  global
        .offset:         80
        .size:           8
        .value_kind:     global_buffer
      - .actual_access:  read_only
        .address_space:  global
        .offset:         88
        .size:           8
        .value_kind:     global_buffer
      - .actual_access:  write_only
        .address_space:  global
        .offset:         96
        .size:           8
        .value_kind:     global_buffer
    .group_segment_fixed_size: 0
    .kernarg_segment_align: 8
    .kernarg_segment_size: 104
    .language:       OpenCL C
    .language_version:
      - 2
      - 0
    .max_flat_workgroup_size: 120
    .name:           fft_rtc_back_len3600_factors_10_10_6_6_wgs_120_tpt_120_halfLds_dp_op_CI_CI_unitstride_sbrr_dirReg
    .private_segment_fixed_size: 0
    .sgpr_count:     32
    .sgpr_spill_count: 0
    .symbol:         fft_rtc_back_len3600_factors_10_10_6_6_wgs_120_tpt_120_halfLds_dp_op_CI_CI_unitstride_sbrr_dirReg.kd
    .uniform_work_group_size: 1
    .uses_dynamic_stack: false
    .vgpr_count:     222
    .vgpr_spill_count: 0
    .wavefront_size: 64
amdhsa.target:   amdgcn-amd-amdhsa--gfx906
amdhsa.version:
  - 1
  - 2
...

	.end_amdgpu_metadata
